;; amdgpu-corpus repo=ROCm/rocFFT kind=compiled arch=gfx1030 opt=O3
	.text
	.amdgcn_target "amdgcn-amd-amdhsa--gfx1030"
	.amdhsa_code_object_version 6
	.protected	fft_rtc_fwd_len1680_factors_2_2_2_2_3_7_5_wgs_112_tpt_112_halfLds_sp_ip_CI_sbrr_dirReg ; -- Begin function fft_rtc_fwd_len1680_factors_2_2_2_2_3_7_5_wgs_112_tpt_112_halfLds_sp_ip_CI_sbrr_dirReg
	.globl	fft_rtc_fwd_len1680_factors_2_2_2_2_3_7_5_wgs_112_tpt_112_halfLds_sp_ip_CI_sbrr_dirReg
	.p2align	8
	.type	fft_rtc_fwd_len1680_factors_2_2_2_2_3_7_5_wgs_112_tpt_112_halfLds_sp_ip_CI_sbrr_dirReg,@function
fft_rtc_fwd_len1680_factors_2_2_2_2_3_7_5_wgs_112_tpt_112_halfLds_sp_ip_CI_sbrr_dirReg: ; @fft_rtc_fwd_len1680_factors_2_2_2_2_3_7_5_wgs_112_tpt_112_halfLds_sp_ip_CI_sbrr_dirReg
; %bb.0:
	s_clause 0x2
	s_load_dwordx2 s[14:15], s[4:5], 0x18
	s_load_dwordx4 s[8:11], s[4:5], 0x0
	s_load_dwordx2 s[12:13], s[4:5], 0x50
	v_mul_u32_u24_e32 v1, 0x24a, v0
	v_mov_b32_e32 v3, 0
	v_add_nc_u32_sdwa v5, s6, v1 dst_sel:DWORD dst_unused:UNUSED_PAD src0_sel:DWORD src1_sel:WORD_1
	v_mov_b32_e32 v1, 0
	v_mov_b32_e32 v6, v3
	v_mov_b32_e32 v2, 0
	s_waitcnt lgkmcnt(0)
	s_load_dwordx2 s[2:3], s[14:15], 0x0
	v_cmp_lt_u64_e64 s0, s[10:11], 2
	s_and_b32 vcc_lo, exec_lo, s0
	s_cbranch_vccnz .LBB0_8
; %bb.1:
	s_load_dwordx2 s[0:1], s[4:5], 0x10
	v_mov_b32_e32 v1, 0
	s_add_u32 s6, s14, 8
	v_mov_b32_e32 v2, 0
	s_addc_u32 s7, s15, 0
	s_mov_b64 s[18:19], 1
	s_waitcnt lgkmcnt(0)
	s_add_u32 s16, s0, 8
	s_addc_u32 s17, s1, 0
.LBB0_2:                                ; =>This Inner Loop Header: Depth=1
	s_load_dwordx2 s[20:21], s[16:17], 0x0
                                        ; implicit-def: $vgpr7_vgpr8
	s_mov_b32 s0, exec_lo
	s_waitcnt lgkmcnt(0)
	v_or_b32_e32 v4, s21, v6
	v_cmpx_ne_u64_e32 0, v[3:4]
	s_xor_b32 s1, exec_lo, s0
	s_cbranch_execz .LBB0_4
; %bb.3:                                ;   in Loop: Header=BB0_2 Depth=1
	v_cvt_f32_u32_e32 v4, s20
	v_cvt_f32_u32_e32 v7, s21
	s_sub_u32 s0, 0, s20
	s_subb_u32 s22, 0, s21
	v_fmac_f32_e32 v4, 0x4f800000, v7
	v_rcp_f32_e32 v4, v4
	v_mul_f32_e32 v4, 0x5f7ffffc, v4
	v_mul_f32_e32 v7, 0x2f800000, v4
	v_trunc_f32_e32 v7, v7
	v_fmac_f32_e32 v4, 0xcf800000, v7
	v_cvt_u32_f32_e32 v7, v7
	v_cvt_u32_f32_e32 v4, v4
	v_mul_lo_u32 v8, s0, v7
	v_mul_hi_u32 v9, s0, v4
	v_mul_lo_u32 v10, s22, v4
	v_add_nc_u32_e32 v8, v9, v8
	v_mul_lo_u32 v9, s0, v4
	v_add_nc_u32_e32 v8, v8, v10
	v_mul_hi_u32 v10, v4, v9
	v_mul_lo_u32 v11, v4, v8
	v_mul_hi_u32 v12, v4, v8
	v_mul_hi_u32 v13, v7, v9
	v_mul_lo_u32 v9, v7, v9
	v_mul_hi_u32 v14, v7, v8
	v_mul_lo_u32 v8, v7, v8
	v_add_co_u32 v10, vcc_lo, v10, v11
	v_add_co_ci_u32_e32 v11, vcc_lo, 0, v12, vcc_lo
	v_add_co_u32 v9, vcc_lo, v10, v9
	v_add_co_ci_u32_e32 v9, vcc_lo, v11, v13, vcc_lo
	v_add_co_ci_u32_e32 v10, vcc_lo, 0, v14, vcc_lo
	v_add_co_u32 v8, vcc_lo, v9, v8
	v_add_co_ci_u32_e32 v9, vcc_lo, 0, v10, vcc_lo
	v_add_co_u32 v4, vcc_lo, v4, v8
	v_add_co_ci_u32_e32 v7, vcc_lo, v7, v9, vcc_lo
	v_mul_hi_u32 v8, s0, v4
	v_mul_lo_u32 v10, s22, v4
	v_mul_lo_u32 v9, s0, v7
	v_add_nc_u32_e32 v8, v8, v9
	v_mul_lo_u32 v9, s0, v4
	v_add_nc_u32_e32 v8, v8, v10
	v_mul_hi_u32 v10, v4, v9
	v_mul_lo_u32 v11, v4, v8
	v_mul_hi_u32 v12, v4, v8
	v_mul_hi_u32 v13, v7, v9
	v_mul_lo_u32 v9, v7, v9
	v_mul_hi_u32 v14, v7, v8
	v_mul_lo_u32 v8, v7, v8
	v_add_co_u32 v10, vcc_lo, v10, v11
	v_add_co_ci_u32_e32 v11, vcc_lo, 0, v12, vcc_lo
	v_add_co_u32 v9, vcc_lo, v10, v9
	v_add_co_ci_u32_e32 v9, vcc_lo, v11, v13, vcc_lo
	v_add_co_ci_u32_e32 v10, vcc_lo, 0, v14, vcc_lo
	v_add_co_u32 v8, vcc_lo, v9, v8
	v_add_co_ci_u32_e32 v9, vcc_lo, 0, v10, vcc_lo
	v_add_co_u32 v4, vcc_lo, v4, v8
	v_add_co_ci_u32_e32 v11, vcc_lo, v7, v9, vcc_lo
	v_mul_hi_u32 v13, v5, v4
	v_mad_u64_u32 v[9:10], null, v6, v4, 0
	v_mad_u64_u32 v[7:8], null, v5, v11, 0
	;; [unrolled: 1-line block ×3, first 2 shown]
	v_add_co_u32 v4, vcc_lo, v13, v7
	v_add_co_ci_u32_e32 v7, vcc_lo, 0, v8, vcc_lo
	v_add_co_u32 v4, vcc_lo, v4, v9
	v_add_co_ci_u32_e32 v4, vcc_lo, v7, v10, vcc_lo
	v_add_co_ci_u32_e32 v7, vcc_lo, 0, v12, vcc_lo
	v_add_co_u32 v4, vcc_lo, v4, v11
	v_add_co_ci_u32_e32 v9, vcc_lo, 0, v7, vcc_lo
	v_mul_lo_u32 v10, s21, v4
	v_mad_u64_u32 v[7:8], null, s20, v4, 0
	v_mul_lo_u32 v11, s20, v9
	v_sub_co_u32 v7, vcc_lo, v5, v7
	v_add3_u32 v8, v8, v11, v10
	v_sub_nc_u32_e32 v10, v6, v8
	v_subrev_co_ci_u32_e64 v10, s0, s21, v10, vcc_lo
	v_add_co_u32 v11, s0, v4, 2
	v_add_co_ci_u32_e64 v12, s0, 0, v9, s0
	v_sub_co_u32 v13, s0, v7, s20
	v_sub_co_ci_u32_e32 v8, vcc_lo, v6, v8, vcc_lo
	v_subrev_co_ci_u32_e64 v10, s0, 0, v10, s0
	v_cmp_le_u32_e32 vcc_lo, s20, v13
	v_cmp_eq_u32_e64 s0, s21, v8
	v_cndmask_b32_e64 v13, 0, -1, vcc_lo
	v_cmp_le_u32_e32 vcc_lo, s21, v10
	v_cndmask_b32_e64 v14, 0, -1, vcc_lo
	v_cmp_le_u32_e32 vcc_lo, s20, v7
	;; [unrolled: 2-line block ×3, first 2 shown]
	v_cndmask_b32_e64 v15, 0, -1, vcc_lo
	v_cmp_eq_u32_e32 vcc_lo, s21, v10
	v_cndmask_b32_e64 v7, v15, v7, s0
	v_cndmask_b32_e32 v10, v14, v13, vcc_lo
	v_add_co_u32 v13, vcc_lo, v4, 1
	v_add_co_ci_u32_e32 v14, vcc_lo, 0, v9, vcc_lo
	v_cmp_ne_u32_e32 vcc_lo, 0, v10
	v_cndmask_b32_e32 v8, v14, v12, vcc_lo
	v_cndmask_b32_e32 v10, v13, v11, vcc_lo
	v_cmp_ne_u32_e32 vcc_lo, 0, v7
	v_cndmask_b32_e32 v8, v9, v8, vcc_lo
	v_cndmask_b32_e32 v7, v4, v10, vcc_lo
.LBB0_4:                                ;   in Loop: Header=BB0_2 Depth=1
	s_andn2_saveexec_b32 s0, s1
	s_cbranch_execz .LBB0_6
; %bb.5:                                ;   in Loop: Header=BB0_2 Depth=1
	v_cvt_f32_u32_e32 v4, s20
	s_sub_i32 s1, 0, s20
	v_rcp_iflag_f32_e32 v4, v4
	v_mul_f32_e32 v4, 0x4f7ffffe, v4
	v_cvt_u32_f32_e32 v4, v4
	v_mul_lo_u32 v7, s1, v4
	v_mul_hi_u32 v7, v4, v7
	v_add_nc_u32_e32 v4, v4, v7
	v_mul_hi_u32 v4, v5, v4
	v_mul_lo_u32 v7, v4, s20
	v_add_nc_u32_e32 v8, 1, v4
	v_sub_nc_u32_e32 v7, v5, v7
	v_subrev_nc_u32_e32 v9, s20, v7
	v_cmp_le_u32_e32 vcc_lo, s20, v7
	v_cndmask_b32_e32 v7, v7, v9, vcc_lo
	v_cndmask_b32_e32 v4, v4, v8, vcc_lo
	v_cmp_le_u32_e32 vcc_lo, s20, v7
	v_add_nc_u32_e32 v8, 1, v4
	v_cndmask_b32_e32 v7, v4, v8, vcc_lo
	v_mov_b32_e32 v8, v3
.LBB0_6:                                ;   in Loop: Header=BB0_2 Depth=1
	s_or_b32 exec_lo, exec_lo, s0
	s_load_dwordx2 s[0:1], s[6:7], 0x0
	v_mul_lo_u32 v4, v8, s20
	v_mul_lo_u32 v11, v7, s21
	v_mad_u64_u32 v[9:10], null, v7, s20, 0
	s_add_u32 s18, s18, 1
	s_addc_u32 s19, s19, 0
	s_add_u32 s6, s6, 8
	s_addc_u32 s7, s7, 0
	;; [unrolled: 2-line block ×3, first 2 shown]
	v_add3_u32 v4, v10, v11, v4
	v_sub_co_u32 v5, vcc_lo, v5, v9
	v_sub_co_ci_u32_e32 v4, vcc_lo, v6, v4, vcc_lo
	s_waitcnt lgkmcnt(0)
	v_mul_lo_u32 v6, s1, v5
	v_mul_lo_u32 v4, s0, v4
	v_mad_u64_u32 v[1:2], null, s0, v5, v[1:2]
	v_cmp_ge_u64_e64 s0, s[18:19], s[10:11]
	s_and_b32 vcc_lo, exec_lo, s0
	v_add3_u32 v2, v6, v2, v4
	s_cbranch_vccnz .LBB0_9
; %bb.7:                                ;   in Loop: Header=BB0_2 Depth=1
	v_mov_b32_e32 v5, v7
	v_mov_b32_e32 v6, v8
	s_branch .LBB0_2
.LBB0_8:
	v_mov_b32_e32 v8, v6
	v_mov_b32_e32 v7, v5
.LBB0_9:
	s_lshl_b64 s[0:1], s[10:11], 3
	v_mul_hi_u32 v3, 0x2492493, v0
	s_add_u32 s0, s14, s0
	s_addc_u32 s1, s15, s1
	s_load_dwordx2 s[4:5], s[4:5], 0x20
	s_load_dwordx2 s[0:1], s[0:1], 0x0
                                        ; implicit-def: $vgpr55
                                        ; implicit-def: $vgpr54
                                        ; implicit-def: $vgpr41
                                        ; implicit-def: $vgpr40
                                        ; implicit-def: $vgpr57
	v_mul_u32_u24_e32 v3, 0x70, v3
	v_sub_nc_u32_e32 v44, v0, v3
	v_add_nc_u32_e32 v43, 0x70, v44
	v_add_nc_u32_e32 v42, 0xe0, v44
	;; [unrolled: 1-line block ×5, first 2 shown]
	s_waitcnt lgkmcnt(0)
	v_cmp_gt_u64_e32 vcc_lo, s[4:5], v[7:8]
	v_mul_lo_u32 v3, s0, v8
	v_mul_lo_u32 v4, s1, v7
	v_mad_u64_u32 v[0:1], null, s0, v7, v[1:2]
	v_cmp_le_u64_e64 s0, s[4:5], v[7:8]
	v_add_nc_u32_e32 v47, 0x2a0, v44
	v_add3_u32 v1, v4, v1, v3
	s_and_saveexec_b32 s1, s0
	s_xor_b32 s0, exec_lo, s1
; %bb.10:
	v_add_nc_u32_e32 v55, 0x70, v44
	v_add_nc_u32_e32 v54, 0xe0, v44
	;; [unrolled: 1-line block ×6, first 2 shown]
; %bb.11:
	s_or_saveexec_b32 s1, s0
	v_lshlrev_b64 v[0:1], 3, v[0:1]
                                        ; implicit-def: $vgpr4
                                        ; implicit-def: $vgpr8
                                        ; implicit-def: $vgpr6
                                        ; implicit-def: $vgpr15
                                        ; implicit-def: $vgpr13
                                        ; implicit-def: $vgpr17
                                        ; implicit-def: $vgpr21
                                        ; implicit-def: $vgpr31
                                        ; implicit-def: $vgpr24
                                        ; implicit-def: $vgpr33
                                        ; implicit-def: $vgpr26
                                        ; implicit-def: $vgpr37
                                        ; implicit-def: $vgpr39
                                        ; implicit-def: $vgpr35
                                        ; implicit-def: $vgpr19
                                        ; implicit-def: $vgpr10
	s_xor_b32 exec_lo, exec_lo, s1
	s_cbranch_execz .LBB0_15
; %bb.12:
	v_add_nc_u32_e32 v10, 0x348, v44
	v_mad_u64_u32 v[2:3], null, s2, v44, 0
	v_mad_u64_u32 v[6:7], null, s2, v43, 0
	;; [unrolled: 1-line block ×3, first 2 shown]
	v_add_nc_u32_e32 v16, 0x3b8, v44
	v_add_nc_u32_e32 v27, 0x498, v44
	;; [unrolled: 1-line block ×3, first 2 shown]
	v_mad_u64_u32 v[31:32], null, s2, v47, 0
	v_mad_u64_u32 v[12:13], null, s2, v16, 0
	;; [unrolled: 1-line block ×3, first 2 shown]
	v_mov_b32_e32 v3, v5
	v_mov_b32_e32 v5, v7
	v_mad_u64_u32 v[29:30], null, s2, v33, 0
	v_add_nc_u32_e32 v35, 0x5e8, v44
	v_mad_u64_u32 v[9:10], null, s3, v10, v[3:4]
	v_mov_b32_e32 v3, v8
	v_mad_u64_u32 v[7:8], null, s3, v43, v[5:6]
	v_add_nc_u32_e32 v10, 0x428, v44
	s_mov_b32 s4, exec_lo
	v_lshlrev_b64 v[14:15], 3, v[2:3]
	v_mov_b32_e32 v5, v9
	v_add_co_u32 v2, s0, s12, v0
	v_mov_b32_e32 v3, v13
	v_add_co_ci_u32_e64 v11, s0, s13, v1, s0
	v_lshlrev_b64 v[4:5], 3, v[4:5]
	v_add_co_u32 v8, s0, v2, v14
	v_add_co_ci_u32_e64 v9, s0, v11, v15, s0
	v_mad_u64_u32 v[18:19], null, s2, v10, 0
	v_mad_u64_u32 v[13:14], null, s3, v16, v[3:4]
	v_mad_u64_u32 v[14:15], null, s2, v42, 0
	v_add_co_u32 v16, s0, v2, v4
	v_add_co_ci_u32_e64 v17, s0, v11, v5, s0
	v_lshlrev_b64 v[3:4], 3, v[6:7]
                                        ; implicit-def: $vgpr38
                                        ; implicit-def: $vgpr36
	v_mov_b32_e32 v5, v15
	v_add_co_u32 v20, s0, v2, v3
	v_mad_u64_u32 v[5:6], null, s3, v42, v[5:6]
	v_mov_b32_e32 v6, v19
	v_add_co_ci_u32_e64 v21, s0, v11, v4, s0
	v_lshlrev_b64 v[3:4], 3, v[12:13]
	v_mad_u64_u32 v[12:13], null, s2, v46, 0
	v_mov_b32_e32 v15, v5
	v_mad_u64_u32 v[24:25], null, s3, v10, v[6:7]
	v_mad_u64_u32 v[25:26], null, s2, v27, 0
	v_lshlrev_b64 v[14:15], 3, v[14:15]
	v_add_co_u32 v22, s0, v2, v3
	v_add_co_ci_u32_e64 v23, s0, v11, v4, s0
	v_mov_b32_e32 v19, v24
	s_clause 0x3
	global_load_dwordx2 v[3:4], v[8:9], off
	global_load_dwordx2 v[7:8], v[16:17], off
	;; [unrolled: 1-line block ×4, first 2 shown]
	v_mad_u64_u32 v[16:17], null, s3, v46, v[13:14]
	v_mov_b32_e32 v17, v26
	v_lshlrev_b64 v[18:19], 3, v[18:19]
	v_add_co_u32 v14, s0, v2, v14
	v_add_co_ci_u32_e64 v15, s0, v11, v15, s0
	v_mov_b32_e32 v13, v16
	v_mad_u64_u32 v[16:17], null, s3, v27, v[17:18]
	v_mad_u64_u32 v[20:21], null, s2, v45, 0
	v_add_co_u32 v17, s0, v2, v18
	v_add_co_ci_u32_e64 v18, s0, v11, v19, s0
	v_add_nc_u32_e32 v19, 0x508, v44
	v_mov_b32_e32 v26, v16
	v_mov_b32_e32 v16, v21
	v_lshlrev_b64 v[12:13], 3, v[12:13]
	v_mad_u64_u32 v[22:23], null, s2, v19, 0
	v_lshlrev_b64 v[24:25], 3, v[25:26]
	v_mad_u64_u32 v[26:27], null, s3, v45, v[16:17]
	v_add_co_u32 v12, s0, v2, v12
	v_mad_u64_u32 v[27:28], null, s2, v56, 0
	v_mov_b32_e32 v16, v23
	v_add_co_ci_u32_e64 v13, s0, v11, v13, s0
	v_add_co_u32 v23, s0, v2, v24
	v_add_co_ci_u32_e64 v24, s0, v11, v25, s0
	v_mov_b32_e32 v21, v26
	v_mad_u64_u32 v[25:26], null, s3, v19, v[16:17]
	v_mov_b32_e32 v26, v28
	s_clause 0x3
	global_load_dwordx2 v[14:15], v[14:15], off
	global_load_dwordx2 v[18:19], v[17:18], off
	;; [unrolled: 1-line block ×4, first 2 shown]
	v_lshlrev_b64 v[20:21], 3, v[20:21]
	v_mov_b32_e32 v23, v25
	v_mad_u64_u32 v[24:25], null, s3, v56, v[26:27]
	v_mov_b32_e32 v25, v30
	v_add_co_u32 v20, s0, v2, v20
	v_lshlrev_b64 v[22:23], 3, v[22:23]
	v_add_co_ci_u32_e64 v21, s0, v11, v21, s0
	v_mad_u64_u32 v[25:26], null, s3, v33, v[25:26]
	v_mad_u64_u32 v[33:34], null, s2, v35, 0
	v_mov_b32_e32 v26, v32
	v_mov_b32_e32 v28, v24
	v_add_co_u32 v22, s0, v2, v22
	v_mov_b32_e32 v30, v25
	v_mad_u64_u32 v[24:25], null, s3, v47, v[26:27]
	v_lshlrev_b64 v[26:27], 3, v[27:28]
	v_mov_b32_e32 v25, v34
	v_add_co_ci_u32_e64 v23, s0, v11, v23, s0
	v_lshlrev_b64 v[28:29], 3, v[29:30]
	v_mad_u64_u32 v[34:35], null, s3, v35, v[25:26]
	v_mov_b32_e32 v32, v24
	v_add_co_u32 v24, s0, v2, v26
	v_add_co_ci_u32_e64 v25, s0, v11, v27, s0
	v_lshlrev_b64 v[26:27], 3, v[31:32]
	v_add_co_u32 v28, s0, v2, v28
	v_lshlrev_b64 v[30:31], 3, v[33:34]
	v_add_co_ci_u32_e64 v29, s0, v11, v29, s0
	v_add_co_u32 v26, s0, v2, v26
	v_add_co_ci_u32_e64 v27, s0, v11, v27, s0
	v_add_co_u32 v34, s0, v2, v30
	v_add_co_ci_u32_e64 v35, s0, v11, v31, s0
	s_clause 0x5
	global_load_dwordx2 v[20:21], v[20:21], off
	global_load_dwordx2 v[30:31], v[22:23], off
	;; [unrolled: 1-line block ×6, first 2 shown]
	v_cmpx_gt_u32_e32 56, v44
	s_cbranch_execz .LBB0_14
; %bb.13:
	v_add_nc_u32_e32 v29, 0x310, v44
	v_add_nc_u32_e32 v39, 0x658, v44
	v_mad_u64_u32 v[27:28], null, s2, v29, 0
	v_mad_u64_u32 v[36:37], null, s2, v39, 0
	v_mov_b32_e32 v22, v28
	v_mov_b32_e32 v28, v37
	s_waitcnt vmcnt(3)
	v_mad_u64_u32 v[37:38], null, s3, v29, v[22:23]
	v_mad_u64_u32 v[38:39], null, s3, v39, v[28:29]
	v_mov_b32_e32 v28, v37
	v_mov_b32_e32 v37, v38
	v_lshlrev_b64 v[27:28], 3, v[27:28]
	v_lshlrev_b64 v[36:37], 3, v[36:37]
	v_add_co_u32 v27, s0, v2, v27
	v_add_co_ci_u32_e64 v28, s0, v11, v28, s0
	v_add_co_u32 v38, s0, v2, v36
	v_add_co_ci_u32_e64 v39, s0, v11, v37, s0
	s_clause 0x1
	global_load_dwordx2 v[36:37], v[27:28], off
	global_load_dwordx2 v[38:39], v[38:39], off
.LBB0_14:
	s_or_b32 exec_lo, exec_lo, s4
	v_mov_b32_e32 v57, v47
	v_mov_b32_e32 v40, v45
	v_mov_b32_e32 v41, v46
	v_mov_b32_e32 v54, v42
	v_mov_b32_e32 v55, v43
.LBB0_15:
	s_or_b32 exec_lo, exec_lo, s1
	s_waitcnt vmcnt(12)
	v_sub_f32_e32 v28, v3, v7
	s_waitcnt vmcnt(10)
	v_sub_f32_e32 v49, v5, v9
	;; [unrolled: 2-line block ×3, first 2 shown]
	v_sub_f32_e32 v51, v14, v18
	v_sub_f32_e32 v53, v12, v16
	v_fma_f32 v27, v3, 2.0, -v28
	s_waitcnt vmcnt(2)
	v_sub_f32_e32 v3, v23, v32
	v_lshl_add_u32 v16, v44, 3, 0
	v_fma_f32 v48, v5, 2.0, -v49
	v_fma_f32 v29, v20, 2.0, -v30
	v_lshl_add_u32 v20, v55, 3, 0
	v_fma_f32 v50, v14, 2.0, -v51
	v_lshl_add_u32 v18, v54, 3, 0
	v_fma_f32 v52, v12, 2.0, -v53
	v_fma_f32 v2, v23, 2.0, -v3
	s_waitcnt vmcnt(0)
	v_sub_f32_e32 v23, v25, v34
	v_sub_f32_e32 v12, v36, v38
	ds_write_b64 v16, v[27:28]
	ds_write_b64 v20, v[48:49]
	;; [unrolled: 1-line block ×3, first 2 shown]
	v_add_nc_u32_e32 v48, 0x310, v44
	v_lshl_add_u32 v34, v56, 3, 0
	v_fma_f32 v22, v25, 2.0, -v23
	v_fma_f32 v11, v36, 2.0, -v12
	v_lshl_add_u32 v25, v41, 3, 0
	v_lshl_add_u32 v36, v40, 3, 0
	;; [unrolled: 1-line block ×3, first 2 shown]
	v_cmp_gt_u32_e64 s0, 56, v44
	v_lshl_add_u32 v38, v48, 3, 0
	ds_write_b64 v25, v[52:53]
	ds_write_b64 v36, v[29:30]
	;; [unrolled: 1-line block ×4, first 2 shown]
	s_and_saveexec_b32 s1, s0
	s_cbranch_execz .LBB0_17
; %bb.16:
	ds_write_b64 v38, v[11:12]
.LBB0_17:
	s_or_b32 exec_lo, exec_lo, s1
	v_lshlrev_b32_e32 v2, 2, v44
	v_lshlrev_b32_e32 v3, 2, v54
	;; [unrolled: 1-line block ×5, first 2 shown]
	v_sub_nc_u32_e32 v49, v16, v2
	v_lshlrev_b32_e32 v65, 2, v57
	s_waitcnt lgkmcnt(0)
	s_barrier
	buffer_gl0_inv
	v_add_nc_u32_e32 v14, 0xc00, v49
	v_add_nc_u32_e32 v22, 0x1000, v49
	v_lshlrev_b32_e32 v5, 2, v55
	v_sub_nc_u32_e32 v51, v18, v3
	ds_read_b32 v9, v49
	ds_read2_b32 v[29:30], v14 offset0:72 offset1:184
	ds_read2_b32 v[22:23], v22 offset0:40 offset1:152
	v_add_nc_u32_e32 v14, 0x1400, v49
	v_sub_nc_u32_e32 v52, v25, v7
	v_sub_nc_u32_e32 v58, v36, v53
	;; [unrolled: 1-line block ×5, first 2 shown]
	ds_read2_b32 v[27:28], v14 offset0:8 offset1:120
	ds_read_b32 v14, v51
	ds_read_b32 v59, v52
	;; [unrolled: 1-line block ×6, first 2 shown]
	ds_read_b32 v58, v49 offset:6048
	s_and_saveexec_b32 s1, s0
	s_cbranch_execz .LBB0_19
; %bb.18:
	ds_read_b32 v11, v49 offset:3136
	ds_read_b32 v12, v49 offset:6496
.LBB0_19:
	s_or_b32 exec_lo, exec_lo, s1
	v_sub_nc_u32_e32 v52, 0, v7
	v_sub_f32_e32 v66, v4, v8
	v_sub_f32_e32 v68, v6, v10
	;; [unrolled: 1-line block ×6, first 2 shown]
	v_sub_nc_u32_e32 v50, 0, v5
	v_sub_nc_u32_e32 v51, 0, v3
	;; [unrolled: 1-line block ×5, first 2 shown]
	v_fma_f32 v65, v4, 2.0, -v66
	v_fma_f32 v67, v6, 2.0, -v68
	v_sub_f32_e32 v76, v24, v33
	v_sub_f32_e32 v78, v26, v35
	v_fma_f32 v6, v37, 2.0, -v7
	v_fma_f32 v69, v15, 2.0, -v70
	;; [unrolled: 1-line block ×6, first 2 shown]
	s_waitcnt lgkmcnt(0)
	s_barrier
	buffer_gl0_inv
	ds_write_b64 v16, v[65:66]
	ds_write_b64 v20, v[67:68]
	;; [unrolled: 1-line block ×7, first 2 shown]
	s_and_saveexec_b32 s1, s0
	s_cbranch_execz .LBB0_21
; %bb.20:
	ds_write_b64 v38, v[6:7]
.LBB0_21:
	s_or_b32 exec_lo, exec_lo, s1
	v_add_nc_u32_e32 v4, 0xc00, v49
	v_add_nc_u32_e32 v13, 0x1000, v49
	;; [unrolled: 1-line block ×5, first 2 shown]
	s_waitcnt lgkmcnt(0)
	s_barrier
	buffer_gl0_inv
	ds_read2_b32 v[15:16], v4 offset0:72 offset1:184
	v_add_nc_u32_e32 v4, v36, v53
	v_add_nc_u32_e32 v31, v34, v10
	v_add_nc_u32_e32 v53, v32, v8
	ds_read_b32 v21, v49
	v_add_nc_u32_e32 v50, v20, v50
	ds_read2_b32 v[17:18], v13 offset0:40 offset1:152
	ds_read2_b32 v[19:20], v19 offset0:8 offset1:120
	ds_read_b32 v68, v51
	ds_read_b32 v26, v52
	;; [unrolled: 1-line block ×6, first 2 shown]
	ds_read_b32 v73, v49 offset:6048
	v_lshlrev_b32_e32 v39, 1, v44
	v_lshlrev_b32_e32 v38, 1, v55
	;; [unrolled: 1-line block ×7, first 2 shown]
	s_and_saveexec_b32 s1, s0
	s_cbranch_execz .LBB0_23
; %bb.22:
	ds_read_b32 v6, v49 offset:3136
	ds_read_b32 v7, v49 offset:6496
.LBB0_23:
	s_or_b32 exec_lo, exec_lo, s1
	v_and_b32_e32 v67, 1, v44
	v_lshlrev_b32_e32 v32, 1, v48
	v_lshlrev_b32_e32 v8, 3, v67
	v_and_or_b32 v57, 0x7fc, v35, v67
	v_and_or_b32 v10, 0x1fc, v38, v67
	v_and_or_b32 v13, 0x3fc, v37, v67
	v_and_or_b32 v56, 0x3fc, v36, v67
	global_load_dwordx2 v[24:25], v8, s[8:9]
	v_and_or_b32 v8, 0xfc, v39, v67
	v_and_or_b32 v69, 0x5fc, v34, v67
	v_and_or_b32 v70, 0x7fc, v33, v67
	v_lshl_add_u32 v79, v57, 2, 0
	v_lshl_add_u32 v76, v10, 2, 0
	;; [unrolled: 1-line block ×7, first 2 shown]
	s_waitcnt vmcnt(0) lgkmcnt(0)
	s_barrier
	buffer_gl0_inv
	v_mul_f32_e32 v8, v15, v25
	v_mul_f32_e32 v57, v19, v25
	;; [unrolled: 1-line block ×8, first 2 shown]
	v_fma_f32 v8, v29, v24, -v8
	v_fma_f32 v57, v27, v24, -v57
	;; [unrolled: 1-line block ×8, first 2 shown]
	v_sub_f32_e32 v8, v9, v8
	v_sub_f32_e32 v74, v60, v57
	;; [unrolled: 1-line block ×8, first 2 shown]
	v_fma_f32 v9, v9, 2.0, -v8
	v_fma_f32 v71, v60, 2.0, -v74
	;; [unrolled: 1-line block ×8, first 2 shown]
	ds_write2_b32 v75, v9, v8 offset1:2
	ds_write2_b32 v76, v63, v10 offset1:2
	;; [unrolled: 1-line block ×7, first 2 shown]
	s_and_saveexec_b32 s1, s0
	s_cbranch_execz .LBB0_25
; %bb.24:
	v_and_or_b32 v8, 0x6fc, v32, v67
	v_lshl_add_u32 v8, v8, 2, 0
	ds_write2_b32 v8, v60, v57 offset1:2
.LBB0_25:
	s_or_b32 exec_lo, exec_lo, s1
	v_add_nc_u32_e32 v8, 0xc00, v49
	v_add_nc_u32_e32 v9, 0x1000, v49
	;; [unrolled: 1-line block ×3, first 2 shown]
	s_waitcnt lgkmcnt(0)
	s_barrier
	buffer_gl0_inv
	ds_read_b32 v61, v49
	ds_read2_b32 v[13:14], v8 offset0:72 offset1:184
	ds_read2_b32 v[10:11], v9 offset0:40 offset1:152
	;; [unrolled: 1-line block ×3, first 2 shown]
	ds_read_b32 v62, v51
	ds_read_b32 v63, v52
	;; [unrolled: 1-line block ×6, first 2 shown]
	ds_read_b32 v59, v49 offset:6048
	v_lshl_add_u32 v56, v44, 2, 0
	s_and_saveexec_b32 s1, s0
	s_cbranch_execz .LBB0_27
; %bb.26:
	ds_read_b32 v60, v56 offset:3136
	ds_read_b32 v57, v49 offset:6496
.LBB0_27:
	s_or_b32 exec_lo, exec_lo, s1
	v_mul_f32_e32 v29, v29, v25
	v_mul_f32_e32 v30, v30, v25
	;; [unrolled: 1-line block ×6, first 2 shown]
	v_fmac_f32_e32 v29, v15, v24
	v_mul_f32_e32 v15, v28, v25
	v_fmac_f32_e32 v30, v16, v24
	v_mul_f32_e32 v16, v58, v25
	v_fmac_f32_e32 v12, v7, v24
	v_fmac_f32_e32 v22, v17, v24
	;; [unrolled: 1-line block ×5, first 2 shown]
	v_sub_f32_e32 v17, v21, v29
	v_sub_f32_e32 v18, v72, v30
	v_fmac_f32_e32 v16, v73, v24
	v_sub_f32_e32 v30, v6, v12
	v_sub_f32_e32 v19, v68, v22
	;; [unrolled: 1-line block ×4, first 2 shown]
	v_fma_f32 v7, v21, 2.0, -v17
	v_sub_f32_e32 v15, v65, v15
	v_sub_f32_e32 v16, v66, v16
	v_fma_f32 v12, v6, 2.0, -v30
	v_fma_f32 v20, v72, 2.0, -v18
	;; [unrolled: 1-line block ×7, first 2 shown]
	s_waitcnt lgkmcnt(0)
	s_barrier
	buffer_gl0_inv
	ds_write2_b32 v75, v7, v17 offset1:2
	ds_write2_b32 v76, v20, v18 offset1:2
	;; [unrolled: 1-line block ×7, first 2 shown]
	s_and_saveexec_b32 s1, s0
	s_cbranch_execz .LBB0_29
; %bb.28:
	v_and_or_b32 v6, 0x6fc, v32, v67
	v_lshl_add_u32 v6, v6, 2, 0
	ds_write2_b32 v6, v12, v30 offset1:2
.LBB0_29:
	s_or_b32 exec_lo, exec_lo, s1
	v_add_nc_u32_e32 v6, 0xc00, v49
	v_add_nc_u32_e32 v7, 0x1000, v49
	;; [unrolled: 1-line block ×3, first 2 shown]
	s_waitcnt lgkmcnt(0)
	s_barrier
	buffer_gl0_inv
	ds_read_b32 v73, v49
	ds_read2_b32 v[23:24], v6 offset0:72 offset1:184
	ds_read2_b32 v[21:22], v7 offset0:40 offset1:152
	;; [unrolled: 1-line block ×3, first 2 shown]
	ds_read_b32 v75, v51
	ds_read_b32 v65, v52
	;; [unrolled: 1-line block ×6, first 2 shown]
	ds_read_b32 v77, v49 offset:6048
	s_and_saveexec_b32 s1, s0
	s_cbranch_execz .LBB0_31
; %bb.30:
	ds_read_b32 v12, v56 offset:3136
	ds_read_b32 v30, v49 offset:6496
.LBB0_31:
	s_or_b32 exec_lo, exec_lo, s1
	v_and_b32_e32 v72, 3, v44
	v_lshlrev_b32_e32 v15, 3, v72
	v_and_or_b32 v27, 0x7f8, v33, v72
	v_and_or_b32 v16, 0x1f8, v38, v72
	v_and_or_b32 v17, 0x3f8, v37, v72
	v_and_or_b32 v18, 0x3f8, v36, v72
	global_load_dwordx2 v[25:26], v15, s[8:9] offset:16
	v_and_or_b32 v15, 0xf8, v39, v72
	v_and_or_b32 v19, 0x7f8, v35, v72
	;; [unrolled: 1-line block ×3, first 2 shown]
	v_lshl_add_u32 v84, v27, 2, 0
	v_lshl_add_u32 v79, v16, 2, 0
	;; [unrolled: 1-line block ×7, first 2 shown]
	s_waitcnt vmcnt(0) lgkmcnt(0)
	s_barrier
	buffer_gl0_inv
	v_mul_f32_e32 v15, v23, v26
	v_mul_f32_e32 v27, v77, v26
	;; [unrolled: 1-line block ×8, first 2 shown]
	v_fma_f32 v15, v13, v25, -v15
	v_fma_f32 v27, v59, v25, -v27
	;; [unrolled: 1-line block ×8, first 2 shown]
	v_sub_f32_e32 v15, v61, v15
	v_sub_f32_e32 v29, v71, v27
	;; [unrolled: 1-line block ×8, first 2 shown]
	v_fma_f32 v58, v61, 2.0, -v15
	v_fma_f32 v28, v60, 2.0, -v27
	v_fma_f32 v61, v74, 2.0, -v16
	v_fma_f32 v62, v62, 2.0, -v17
	v_fma_f32 v63, v63, 2.0, -v18
	v_fma_f32 v64, v69, 2.0, -v19
	v_fma_f32 v69, v70, 2.0, -v20
	v_fma_f32 v70, v71, 2.0, -v29
	ds_write2_b32 v78, v58, v15 offset1:4
	ds_write2_b32 v79, v61, v16 offset1:4
	;; [unrolled: 1-line block ×7, first 2 shown]
	s_and_saveexec_b32 s1, s0
	s_cbranch_execz .LBB0_33
; %bb.32:
	v_and_or_b32 v15, 0x6f8, v32, v72
	v_lshl_add_u32 v15, v15, 2, 0
	ds_write2_b32 v15, v28, v27 offset1:4
.LBB0_33:
	s_or_b32 exec_lo, exec_lo, s1
	v_add_nc_u32_e32 v15, 0xc00, v49
	v_add_nc_u32_e32 v16, 0x1000, v49
	;; [unrolled: 1-line block ×3, first 2 shown]
	s_waitcnt lgkmcnt(0)
	s_barrier
	buffer_gl0_inv
	ds_read_b32 v58, v49
	ds_read2_b32 v[19:20], v15 offset0:72 offset1:184
	ds_read2_b32 v[17:18], v16 offset0:40 offset1:152
	;; [unrolled: 1-line block ×3, first 2 shown]
	ds_read_b32 v60, v51
	ds_read_b32 v61, v52
	;; [unrolled: 1-line block ×6, first 2 shown]
	ds_read_b32 v29, v49 offset:6048
	s_and_saveexec_b32 s1, s0
	s_cbranch_execz .LBB0_35
; %bb.34:
	ds_read_b32 v28, v56 offset:3136
	ds_read_b32 v27, v49 offset:6496
.LBB0_35:
	s_or_b32 exec_lo, exec_lo, s1
	v_mul_f32_e32 v9, v9, v26
	v_mul_f32_e32 v13, v13, v26
	;; [unrolled: 1-line block ×5, first 2 shown]
	v_fmac_f32_e32 v9, v7, v25
	v_mul_f32_e32 v7, v57, v26
	v_mul_f32_e32 v11, v11, v26
	v_fmac_f32_e32 v13, v23, v25
	v_fmac_f32_e32 v8, v6, v25
	v_mul_f32_e32 v6, v59, v26
	v_fmac_f32_e32 v7, v30, v25
	v_fmac_f32_e32 v14, v24, v25
	;; [unrolled: 1-line block ×4, first 2 shown]
	v_sub_f32_e32 v13, v73, v13
	v_fmac_f32_e32 v6, v77, v25
	v_sub_f32_e32 v22, v12, v7
	v_sub_f32_e32 v14, v76, v14
	;; [unrolled: 1-line block ×5, first 2 shown]
	v_fma_f32 v23, v73, 2.0, -v13
	v_sub_f32_e32 v9, v67, v9
	v_sub_f32_e32 v6, v68, v6
	v_fma_f32 v21, v12, 2.0, -v22
	v_fma_f32 v24, v76, 2.0, -v14
	;; [unrolled: 1-line block ×7, first 2 shown]
	s_waitcnt lgkmcnt(0)
	s_barrier
	buffer_gl0_inv
	ds_write2_b32 v78, v23, v13 offset1:4
	ds_write2_b32 v79, v24, v14 offset1:4
	;; [unrolled: 1-line block ×7, first 2 shown]
	s_and_saveexec_b32 s1, s0
	s_cbranch_execz .LBB0_37
; %bb.36:
	v_and_or_b32 v6, 0x6f8, v32, v72
	v_lshl_add_u32 v6, v6, 2, 0
	ds_write2_b32 v6, v21, v22 offset1:4
.LBB0_37:
	s_or_b32 exec_lo, exec_lo, s1
	v_add_nc_u32_e32 v6, 0xc00, v49
	v_add_nc_u32_e32 v7, 0x1000, v49
	v_add_nc_u32_e32 v8, 0x1400, v49
	s_waitcnt lgkmcnt(0)
	s_barrier
	buffer_gl0_inv
	ds_read_b32 v57, v49
	ds_read2_b32 v[11:12], v6 offset0:72 offset1:184
	ds_read2_b32 v[9:10], v7 offset0:40 offset1:152
	;; [unrolled: 1-line block ×3, first 2 shown]
	ds_read_b32 v23, v51
	ds_read_b32 v24, v52
	ds_read_b32 v25, v4
	ds_read_b32 v26, v31
	ds_read_b32 v30, v53
	ds_read_b32 v65, v50
	ds_read_b32 v66, v49 offset:6048
	s_and_saveexec_b32 s1, s0
	s_cbranch_execz .LBB0_39
; %bb.38:
	ds_read_b32 v21, v56 offset:3136
	ds_read_b32 v22, v49 offset:6496
.LBB0_39:
	s_or_b32 exec_lo, exec_lo, s1
	v_and_b32_e32 v59, 7, v44
	v_lshlrev_b32_e32 v6, 3, v59
	v_and_or_b32 v38, 0x1f0, v38, v59
	v_and_or_b32 v67, 0x5f0, v34, v59
	;; [unrolled: 1-line block ×4, first 2 shown]
	global_load_dwordx2 v[13:14], v6, s[8:9] offset:48
	v_and_or_b32 v6, 0xf0, v39, v59
	v_and_or_b32 v39, 0x7f0, v35, v59
	v_lshl_add_u32 v34, v38, 2, 0
	v_lshl_add_u32 v38, v67, 2, 0
	;; [unrolled: 1-line block ×6, first 2 shown]
	v_and_or_b32 v36, 0x3f0, v36, v59
	s_waitcnt vmcnt(0) lgkmcnt(0)
	s_barrier
	buffer_gl0_inv
	v_lshl_add_u32 v36, v36, 2, 0
	v_mul_f32_e32 v6, v11, v14
	v_mul_f32_e32 v67, v12, v14
	;; [unrolled: 1-line block ×8, first 2 shown]
	v_fma_f32 v6, v19, v13, -v6
	v_fma_f32 v67, v20, v13, -v67
	v_fma_f32 v68, v17, v13, -v68
	v_fma_f32 v70, v18, v13, -v70
	v_fma_f32 v71, v15, v13, -v71
	v_fma_f32 v72, v16, v13, -v72
	v_fma_f32 v73, v29, v13, -v73
	v_fma_f32 v74, v27, v13, -v74
	v_sub_f32_e32 v75, v58, v6
	v_sub_f32_e32 v67, v69, v67
	;; [unrolled: 1-line block ×8, first 2 shown]
	v_fma_f32 v58, v58, 2.0, -v75
	v_fma_f32 v69, v69, 2.0, -v67
	;; [unrolled: 1-line block ×7, first 2 shown]
	ds_write2_b32 v33, v58, v75 offset1:8
	ds_write2_b32 v34, v69, v67 offset1:8
	;; [unrolled: 1-line block ×7, first 2 shown]
	s_and_saveexec_b32 s1, s0
	s_cbranch_execz .LBB0_41
; %bb.40:
	v_and_or_b32 v58, 0x6f0, v32, v59
	v_fma_f32 v28, v28, 2.0, -v6
	v_lshl_add_u32 v58, v58, 2, 0
	ds_write2_b32 v58, v28, v6 offset1:8
.LBB0_41:
	s_or_b32 exec_lo, exec_lo, s1
	v_mul_f32_e32 v19, v19, v14
	v_mul_f32_e32 v20, v20, v14
	v_mul_f32_e32 v17, v17, v14
	v_mul_f32_e32 v18, v18, v14
	v_mul_f32_e32 v61, v15, v14
	v_fmac_f32_e32 v19, v11, v13
	v_fmac_f32_e32 v20, v12, v13
	;; [unrolled: 1-line block ×4, first 2 shown]
	v_mul_f32_e32 v62, v16, v14
	v_mul_f32_e32 v29, v29, v14
	;; [unrolled: 1-line block ×3, first 2 shown]
	v_sub_f32_e32 v64, v57, v19
	v_add_nc_u32_e32 v28, 0xa00, v49
	v_add_nc_u32_e32 v27, 0x1000, v49
	;; [unrolled: 1-line block ×4, first 2 shown]
	v_fmac_f32_e32 v61, v7, v13
	v_sub_f32_e32 v67, v65, v20
	v_fmac_f32_e32 v62, v8, v13
	v_fmac_f32_e32 v29, v66, v13
	v_fmac_f32_e32 v63, v22, v13
	v_fma_f32 v66, v57, 2.0, -v64
	v_sub_f32_e32 v68, v23, v17
	v_sub_f32_e32 v69, v24, v18
	s_waitcnt lgkmcnt(0)
	s_barrier
	buffer_gl0_inv
	ds_read_b32 v7, v49
	ds_read2_b32 v[13:14], v27 offset0:96 offset1:208
	ds_read2_b32 v[15:16], v28 offset0:32 offset1:144
	;; [unrolled: 1-line block ×3, first 2 shown]
	ds_read_b32 v18, v51
	ds_read_b32 v17, v52
	ds_read2_b32 v[11:12], v60 offset0:128 offset1:240
	ds_read_b32 v22, v31
	ds_read_b32 v57, v4
	;; [unrolled: 1-line block ×3, first 2 shown]
	ds_read_b32 v20, v49 offset:6272
	v_sub_f32_e32 v61, v25, v61
	v_sub_f32_e32 v62, v26, v62
	;; [unrolled: 1-line block ×4, first 2 shown]
	v_fma_f32 v65, v65, 2.0, -v67
	v_fma_f32 v23, v23, 2.0, -v68
	;; [unrolled: 1-line block ×6, first 2 shown]
	s_waitcnt lgkmcnt(0)
	s_barrier
	buffer_gl0_inv
	ds_write2_b32 v33, v66, v64 offset1:8
	ds_write2_b32 v34, v65, v67 offset1:8
	;; [unrolled: 1-line block ×7, first 2 shown]
	s_and_saveexec_b32 s1, s0
	s_cbranch_execz .LBB0_43
; %bb.42:
	v_and_or_b32 v23, 0x6f0, v32, v59
	v_fma_f32 v21, v21, 2.0, -v8
	v_lshl_add_u32 v23, v23, 2, 0
	ds_write2_b32 v23, v21, v8 offset1:8
.LBB0_43:
	s_or_b32 exec_lo, exec_lo, s1
	v_and_b32_e32 v21, 15, v44
	s_waitcnt lgkmcnt(0)
	s_barrier
	buffer_gl0_inv
	v_lshrrev_b32_e32 v36, 4, v55
	v_lshlrev_b32_e32 v23, 4, v21
	v_lshrrev_b32_e32 v37, 4, v54
	v_lshrrev_b32_e32 v38, 4, v41
	;; [unrolled: 1-line block ×4, first 2 shown]
	global_load_dwordx4 v[23:26], v23, s[8:9] offset:112
	ds_read_b32 v29, v49
	ds_read2_b32 v[69:70], v27 offset0:96 offset1:208
	ds_read2_b32 v[75:76], v28 offset0:32 offset1:144
	;; [unrolled: 1-line block ×3, first 2 shown]
	ds_read_b32 v30, v51
	ds_read_b32 v28, v52
	ds_read2_b32 v[59:60], v60 offset0:128 offset1:240
	ds_read_b32 v27, v31
	ds_read_b32 v4, v4
	;; [unrolled: 1-line block ×3, first 2 shown]
	ds_read_b32 v79, v49 offset:6272
	v_mul_lo_u32 v36, v36, 48
	v_mul_lo_u32 v37, v37, 48
	;; [unrolled: 1-line block ×4, first 2 shown]
	v_mul_u32_u24_e32 v35, 48, v35
	v_add_nc_u32_e32 v32, 0x80, v49
	v_add_nc_u32_e32 v33, 64, v49
	;; [unrolled: 1-line block ×3, first 2 shown]
	v_or_b32_e32 v36, v36, v21
	v_or_b32_e32 v35, v35, v21
	;; [unrolled: 1-line block ×5, first 2 shown]
	v_lshl_add_u32 v38, v36, 2, 0
	v_lshl_add_u32 v39, v35, 2, 0
	;; [unrolled: 1-line block ×5, first 2 shown]
	s_waitcnt vmcnt(0) lgkmcnt(0)
	s_barrier
	buffer_gl0_inv
	v_cmp_gt_u32_e64 s0, 16, v44
	v_mul_f32_e32 v21, v27, v24
	v_mul_f32_e32 v64, v69, v26
	;; [unrolled: 1-line block ×17, first 2 shown]
	v_fma_f32 v73, v22, v23, -v21
	v_fma_f32 v74, v13, v25, -v64
	v_fmac_f32_e32 v65, v69, v25
	v_fma_f32 v69, v15, v23, -v68
	v_fma_f32 v72, v14, v25, -v72
	v_mul_f32_e32 v62, v9, v26
	v_mul_f32_e32 v40, v10, v26
	v_mul_f32_e32 v41, v20, v26
	v_fmac_f32_e32 v63, v70, v25
	v_fma_f32 v68, v16, v23, -v80
	v_fma_f32 v70, v9, v25, -v81
	;; [unrolled: 1-line block ×6, first 2 shown]
	v_fmac_f32_e32 v71, v27, v23
	v_add_f32_e32 v13, v73, v74
	v_fmac_f32_e32 v67, v75, v23
	v_add_f32_e32 v16, v69, v72
	v_fmac_f32_e32 v66, v76, v23
	v_fmac_f32_e32 v62, v77, v25
	;; [unrolled: 1-line block ×6, first 2 shown]
	v_add_f32_e32 v22, v68, v70
	v_add_f32_e32 v25, v9, v11
	;; [unrolled: 1-line block ×4, first 2 shown]
	v_sub_f32_e32 v14, v71, v65
	v_fmac_f32_e32 v7, -0.5, v13
	v_add_f32_e32 v15, v19, v69
	v_sub_f32_e32 v20, v67, v63
	v_fmac_f32_e32 v19, -0.5, v16
	v_add_f32_e32 v21, v18, v68
	v_sub_f32_e32 v23, v66, v62
	v_add_f32_e32 v24, v17, v9
	v_sub_f32_e32 v26, v58, v40
	;; [unrolled: 2-line block ×3, first 2 shown]
	v_fmac_f32_e32 v18, -0.5, v22
	v_fmac_f32_e32 v17, -0.5, v25
	;; [unrolled: 1-line block ×3, first 2 shown]
	v_add_f32_e32 v12, v12, v74
	v_fmamk_f32 v22, v14, 0x3f5db3d7, v7
	v_fmac_f32_e32 v7, 0xbf5db3d7, v14
	v_add_f32_e32 v13, v15, v72
	v_fmamk_f32 v14, v20, 0x3f5db3d7, v19
	v_fmac_f32_e32 v19, 0xbf5db3d7, v20
	v_add_f32_e32 v15, v21, v70
	v_add_f32_e32 v16, v24, v11
	;; [unrolled: 1-line block ×3, first 2 shown]
	v_fmamk_f32 v20, v23, 0x3f5db3d7, v18
	v_fmac_f32_e32 v18, 0xbf5db3d7, v23
	v_fmamk_f32 v23, v26, 0x3f5db3d7, v17
	v_fmamk_f32 v24, v60, 0x3f5db3d7, v57
	v_fmac_f32_e32 v17, 0xbf5db3d7, v26
	v_fmac_f32_e32 v57, 0xbf5db3d7, v60
	ds_write2_b32 v39, v12, v22 offset1:16
	ds_write_b32 v39, v7 offset:128
	ds_write2_b32 v38, v13, v14 offset1:16
	ds_write_b32 v38, v19 offset:128
	;; [unrolled: 2-line block ×5, first 2 shown]
	s_waitcnt lgkmcnt(0)
	s_barrier
	buffer_gl0_inv
	ds_read2_b32 v[12:13], v49 offset1:240
	ds_read2st64_b32 v[26:27], v32 offset0:5 offset1:7
	ds_read2st64_b32 v[24:25], v33 offset0:9 offset1:11
	ds_read2st64_b32 v[22:23], v49 offset0:13 offset1:15
	ds_read2st64_b32 v[20:21], v34 offset0:16 offset1:18
	ds_read2st64_b32 v[18:19], v32 offset0:20 offset1:22
	ds_read_b32 v59, v50
	ds_read_b32 v60, v49 offset:6208
                                        ; implicit-def: $vgpr17
                                        ; implicit-def: $vgpr15
	s_and_saveexec_b32 s1, s0
	s_cbranch_execz .LBB0_45
; %bb.44:
	v_add_nc_u32_e32 v6, 0x740, v56
	v_add_nc_u32_e32 v14, 0xec0, v56
	;; [unrolled: 1-line block ×3, first 2 shown]
	ds_read_b32 v57, v51
	ds_read2_b32 v[6:7], v6 offset1:240
	ds_read2_b32 v[16:17], v14 offset1:240
	ds_read2_b32 v[14:15], v15 offset1:240
.LBB0_45:
	s_or_b32 exec_lo, exec_lo, s1
	v_add_f32_e32 v75, v71, v65
	v_add_f32_e32 v71, v29, v71
	v_sub_f32_e32 v73, v73, v74
	v_add_f32_e32 v74, v67, v63
	v_add_f32_e32 v67, v31, v67
	v_fmac_f32_e32 v29, -0.5, v75
	v_add_f32_e32 v75, v66, v62
	v_sub_f32_e32 v69, v69, v72
	v_fmac_f32_e32 v31, -0.5, v74
	v_add_f32_e32 v63, v67, v63
	v_add_f32_e32 v66, v30, v66
	v_fmac_f32_e32 v30, -0.5, v75
	v_sub_f32_e32 v67, v68, v70
	v_fmamk_f32 v68, v69, 0xbf5db3d7, v31
	v_fmac_f32_e32 v31, 0x3f5db3d7, v69
	v_add_f32_e32 v62, v66, v62
	v_add_f32_e32 v66, v58, v40
	v_fmamk_f32 v69, v67, 0xbf5db3d7, v30
	v_fmac_f32_e32 v30, 0x3f5db3d7, v67
	v_add_f32_e32 v67, v61, v41
	v_add_f32_e32 v58, v28, v58
	v_fmac_f32_e32 v28, -0.5, v66
	v_sub_f32_e32 v9, v9, v11
	v_add_f32_e32 v11, v4, v61
	v_fmac_f32_e32 v4, -0.5, v67
	v_sub_f32_e32 v10, v10, v64
	v_add_f32_e32 v65, v71, v65
	v_fmamk_f32 v71, v73, 0xbf5db3d7, v29
	v_fmac_f32_e32 v29, 0x3f5db3d7, v73
	v_add_f32_e32 v40, v58, v40
	v_fmamk_f32 v58, v9, 0xbf5db3d7, v28
	v_fmac_f32_e32 v28, 0x3f5db3d7, v9
	;; [unrolled: 3-line block ×3, first 2 shown]
	s_waitcnt lgkmcnt(0)
	s_barrier
	buffer_gl0_inv
	ds_write2_b32 v39, v65, v71 offset1:16
	ds_write_b32 v39, v29 offset:128
	ds_write2_b32 v38, v63, v68 offset1:16
	ds_write_b32 v38, v31 offset:128
	;; [unrolled: 2-line block ×5, first 2 shown]
	s_waitcnt lgkmcnt(0)
	s_barrier
	buffer_gl0_inv
	ds_read2_b32 v[10:11], v49 offset1:240
	ds_read2st64_b32 v[40:41], v32 offset0:5 offset1:7
	ds_read2st64_b32 v[38:39], v33 offset0:9 offset1:11
	;; [unrolled: 1-line block ×5, first 2 shown]
	ds_read_b32 v58, v50
	ds_read_b32 v61, v49 offset:6208
                                        ; implicit-def: $vgpr31
                                        ; implicit-def: $vgpr29
	s_and_saveexec_b32 s1, s0
	s_cbranch_execz .LBB0_47
; %bb.46:
	v_add_nc_u32_e32 v8, 0x740, v56
	v_add_nc_u32_e32 v28, 0xec0, v56
	;; [unrolled: 1-line block ×3, first 2 shown]
	ds_read_b32 v4, v51
	ds_read2_b32 v[8:9], v8 offset1:240
	ds_read2_b32 v[30:31], v28 offset1:240
	;; [unrolled: 1-line block ×3, first 2 shown]
.LBB0_47:
	s_or_b32 exec_lo, exec_lo, s1
	v_and_b32_e32 v56, 0xff, v44
	v_and_b32_e32 v62, 0xff, v55
	v_mov_b32_e32 v64, 6
	v_mul_lo_u16 v56, 0xab, v56
	v_mul_lo_u16 v62, 0xab, v62
	v_lshrrev_b16 v56, 13, v56
	v_lshrrev_b16 v62, 13, v62
	v_mul_lo_u16 v63, v56, 48
	v_mul_lo_u16 v66, v62, 48
	v_sub_nc_u16 v63, v44, v63
	v_sub_nc_u16 v55, v55, v66
	v_mov_b32_e32 v66, 0xaaab
	v_mul_u32_u24_sdwa v65, v63, v64 dst_sel:DWORD dst_unused:UNUSED_PAD src0_sel:BYTE_0 src1_sel:DWORD
	v_mul_u32_u24_sdwa v64, v55, v64 dst_sel:DWORD dst_unused:UNUSED_PAD src0_sel:BYTE_0 src1_sel:DWORD
	v_lshlrev_b32_e32 v65, 3, v65
	v_lshlrev_b32_e32 v64, 3, v64
	s_clause 0x3
	global_load_dwordx4 v[74:77], v65, s[8:9] offset:368
	global_load_dwordx4 v[78:81], v65, s[8:9] offset:384
	;; [unrolled: 1-line block ×4, first 2 shown]
	v_mul_u32_u24_sdwa v65, v54, v66 dst_sel:DWORD dst_unused:UNUSED_PAD src0_sel:WORD_0 src1_sel:DWORD
	s_clause 0x1
	global_load_dwordx4 v[90:93], v64, s[8:9] offset:384
	global_load_dwordx4 v[94:97], v64, s[8:9] offset:400
	v_lshrrev_b32_e32 v65, 21, v65
	v_mul_lo_u16 v64, v65, 48
	v_mov_b32_e32 v65, 2
	v_sub_nc_u16 v54, v54, v64
	v_lshlrev_b32_sdwa v55, v65, v55 dst_sel:DWORD dst_unused:UNUSED_PAD src0_sel:DWORD src1_sel:BYTE_0
	v_lshlrev_b32_sdwa v63, v65, v63 dst_sel:DWORD dst_unused:UNUSED_PAD src0_sel:DWORD src1_sel:BYTE_0
	v_and_b32_e32 v54, 0xffff, v54
	v_mul_u32_u24_e32 v64, 6, v54
	v_lshl_add_u32 v54, v54, 2, 0
	v_lshlrev_b32_e32 v64, 3, v64
	s_clause 0x2
	global_load_dwordx4 v[98:101], v64, s[8:9] offset:368
	global_load_dwordx4 v[102:105], v64, s[8:9] offset:384
	;; [unrolled: 1-line block ×3, first 2 shown]
	v_mov_b32_e32 v64, 0x540
	s_waitcnt vmcnt(0) lgkmcnt(0)
	s_barrier
	buffer_gl0_inv
	v_mul_u32_u24_sdwa v62, v62, v64 dst_sel:DWORD dst_unused:UNUSED_PAD src0_sel:WORD_0 src1_sel:DWORD
	v_mul_u32_u24_sdwa v56, v56, v64 dst_sel:DWORD dst_unused:UNUSED_PAD src0_sel:WORD_0 src1_sel:DWORD
	v_add3_u32 v55, 0, v62, v55
	v_add3_u32 v56, 0, v56, v63
	v_mul_f32_e32 v110, v11, v75
	v_mul_f32_e32 v67, v13, v75
	;; [unrolled: 1-line block ×23, first 2 shown]
	v_fma_f32 v75, v13, v74, -v110
	v_fmac_f32_e32 v67, v11, v74
	v_fma_f32 v74, v27, v76, -v111
	v_fmac_f32_e32 v71, v37, v80
	;; [unrolled: 2-line block ×3, first 2 shown]
	v_fma_f32 v35, v19, v84, -v83
	v_fma_f32 v11, v24, v88, -v87
	v_fmac_f32_e32 v69, v32, v94
	v_mul_f32_e32 v70, v60, v97
	v_fmac_f32_e32 v68, v41, v76
	v_fma_f32 v41, v25, v78, -v77
	v_fmac_f32_e32 v66, v39, v78
	v_mul_f32_e32 v27, v8, v99
	v_mul_f32_e32 v32, v9, v101
	;; [unrolled: 1-line block ×3, first 2 shown]
	v_fma_f32 v39, v23, v80, -v79
	v_fmac_f32_e32 v73, v33, v84
	v_fma_f32 v13, v26, v86, -v85
	v_fmac_f32_e32 v62, v40, v86
	v_fmac_f32_e32 v64, v38, v88
	v_fma_f32 v19, v22, v90, -v89
	v_fmac_f32_e32 v63, v36, v90
	v_fmac_f32_e32 v65, v34, v92
	v_fma_f32 v18, v18, v94, -v93
	v_fma_f32 v21, v60, v96, -v95
	v_mul_f32_e32 v23, v6, v99
	v_mul_f32_e32 v34, v30, v103
	v_mul_f32_e32 v22, v16, v103
	v_mul_f32_e32 v36, v31, v105
	v_mul_f32_e32 v25, v17, v105
	v_mul_f32_e32 v38, v28, v107
	v_mul_f32_e32 v26, v14, v107
	v_mul_f32_e32 v40, v29, v109
	v_fma_f32 v27, v6, v98, -v27
	v_fma_f32 v6, v7, v100, -v32
	v_fmac_f32_e32 v24, v9, v100
	v_add_f32_e32 v7, v75, v35
	v_add_f32_e32 v9, v74, v37
	v_fmac_f32_e32 v70, v61, v96
	v_mul_f32_e32 v33, v15, v109
	v_fma_f32 v20, v20, v92, -v91
	v_fmac_f32_e32 v23, v8, v98
	v_fma_f32 v32, v16, v102, -v34
	v_fmac_f32_e32 v22, v30, v102
	;; [unrolled: 2-line block ×4, first 2 shown]
	v_fma_f32 v28, v15, v108, -v40
	v_sub_f32_e32 v8, v67, v73
	v_sub_f32_e32 v14, v68, v72
	v_add_f32_e32 v15, v41, v39
	v_sub_f32_e32 v16, v71, v66
	v_add_f32_e32 v17, v13, v21
	v_add_f32_e32 v34, v11, v18
	;; [unrolled: 1-line block ×3, first 2 shown]
	v_fmac_f32_e32 v33, v29, v108
	v_sub_f32_e32 v29, v62, v70
	v_sub_f32_e32 v36, v64, v69
	;; [unrolled: 1-line block ×3, first 2 shown]
	v_add_f32_e32 v38, v19, v20
	v_sub_f32_e32 v61, v9, v7
	v_sub_f32_e32 v7, v7, v15
	;; [unrolled: 1-line block ×3, first 2 shown]
	v_add_f32_e32 v76, v16, v14
	v_sub_f32_e32 v77, v16, v14
	v_sub_f32_e32 v14, v14, v8
	v_add_f32_e32 v78, v34, v17
	v_add_f32_e32 v15, v15, v60
	;; [unrolled: 1-line block ×3, first 2 shown]
	v_sub_f32_e32 v81, v40, v36
	v_sub_f32_e32 v36, v36, v29
	v_sub_f32_e32 v16, v8, v16
	v_sub_f32_e32 v79, v34, v17
	v_sub_f32_e32 v17, v17, v38
	v_sub_f32_e32 v34, v38, v34
	v_add_f32_e32 v8, v76, v8
	v_mul_f32_e32 v7, 0x3f4a47b2, v7
	v_mul_f32_e32 v60, 0x3d64c772, v9
	;; [unrolled: 1-line block ×4, first 2 shown]
	v_add_f32_e32 v38, v38, v78
	v_add_f32_e32 v12, v12, v15
	v_sub_f32_e32 v40, v29, v40
	v_add_f32_e32 v29, v80, v29
	v_mul_f32_e32 v80, 0xbf08b237, v81
	v_mul_f32_e32 v81, 0x3f5ff5aa, v36
	v_mul_f32_e32 v17, 0x3f4a47b2, v17
	v_fmamk_f32 v9, v9, 0x3d64c772, v7
	v_fma_f32 v60, 0x3f3bfb3b, v61, -v60
	v_fma_f32 v7, 0xbf3bfb3b, v61, -v7
	v_fmamk_f32 v61, v16, 0x3eae86e6, v76
	v_fma_f32 v14, 0x3f5ff5aa, v14, -v76
	v_fma_f32 v16, 0xbeae86e6, v16, -v77
	v_add_f32_e32 v59, v59, v38
	v_mul_f32_e32 v78, 0x3d64c772, v34
	v_fmamk_f32 v15, v15, 0xbf955555, v12
	v_fmamk_f32 v77, v40, 0x3eae86e6, v80
	v_fma_f32 v36, 0x3f5ff5aa, v36, -v80
	v_fma_f32 v40, 0xbeae86e6, v40, -v81
	v_fmamk_f32 v34, v34, 0x3d64c772, v17
	v_fmac_f32_e32 v61, 0x3ee1c552, v8
	v_fmac_f32_e32 v14, 0x3ee1c552, v8
	;; [unrolled: 1-line block ×3, first 2 shown]
	v_fmamk_f32 v8, v38, 0xbf955555, v59
	v_fma_f32 v76, 0x3f3bfb3b, v79, -v78
	v_fma_f32 v17, 0xbf3bfb3b, v79, -v17
	v_add_f32_e32 v9, v9, v15
	v_fmac_f32_e32 v77, 0x3ee1c552, v29
	v_fmac_f32_e32 v36, 0x3ee1c552, v29
	;; [unrolled: 1-line block ×3, first 2 shown]
	v_add_f32_e32 v29, v60, v15
	v_add_f32_e32 v7, v7, v15
	;; [unrolled: 1-line block ×7, first 2 shown]
	v_sub_f32_e32 v60, v29, v14
	v_add_f32_e32 v14, v14, v29
	v_sub_f32_e32 v7, v7, v16
	v_sub_f32_e32 v9, v9, v61
	v_add_f32_e32 v16, v77, v15
	v_add_f32_e32 v29, v40, v8
	v_sub_f32_e32 v61, v34, v36
	v_add_f32_e32 v34, v36, v34
	v_sub_f32_e32 v8, v8, v40
	v_sub_f32_e32 v15, v15, v77
	ds_write2_b32 v56, v12, v17 offset1:48
	ds_write2_b32 v56, v38, v60 offset0:96 offset1:144
	ds_write2_b32 v56, v14, v7 offset0:192 offset1:240
	ds_write_b32 v56, v9 offset:1152
	ds_write2_b32 v55, v59, v16 offset1:48
	ds_write2_b32 v55, v29, v61 offset0:96 offset1:144
	ds_write2_b32 v55, v34, v8 offset0:192 offset1:240
	ds_write_b32 v55, v15 offset:1152
	s_and_saveexec_b32 s1, s0
	s_cbranch_execz .LBB0_49
; %bb.48:
	v_add_f32_e32 v7, v27, v28
	v_add_f32_e32 v9, v6, v31
	;; [unrolled: 1-line block ×3, first 2 shown]
	v_sub_f32_e32 v12, v25, v22
	v_sub_f32_e32 v16, v24, v26
	;; [unrolled: 1-line block ×3, first 2 shown]
	v_add_f32_e32 v15, v9, v7
	v_sub_f32_e32 v14, v7, v8
	v_sub_f32_e32 v29, v8, v9
	;; [unrolled: 1-line block ×4, first 2 shown]
	v_add_f32_e32 v8, v8, v15
	v_sub_f32_e32 v15, v12, v16
	v_mul_f32_e32 v14, 0x3f4a47b2, v14
	v_mul_f32_e32 v36, 0x3d64c772, v29
	v_sub_f32_e32 v40, v17, v12
	v_add_f32_e32 v38, v57, v8
	v_add_f32_e32 v12, v12, v16
	v_mul_f32_e32 v15, 0xbf08b237, v15
	v_mul_f32_e32 v9, 0x3f5ff5aa, v34
	v_fmamk_f32 v29, v29, 0x3d64c772, v14
	v_fmamk_f32 v8, v8, 0xbf955555, v38
	v_add_f32_e32 v12, v12, v17
	v_fma_f32 v14, 0xbf3bfb3b, v7, -v14
	v_fma_f32 v16, 0x3f5ff5aa, v34, -v15
	;; [unrolled: 1-line block ×3, first 2 shown]
	v_fmamk_f32 v15, v40, 0x3eae86e6, v15
	v_fma_f32 v9, 0xbeae86e6, v40, -v9
	v_add_f32_e32 v14, v14, v8
	v_fmac_f32_e32 v16, 0x3ee1c552, v12
	v_add_f32_e32 v7, v7, v8
	v_add_f32_e32 v8, v29, v8
	v_fmac_f32_e32 v15, 0x3ee1c552, v12
	v_fmac_f32_e32 v9, 0x3ee1c552, v12
	v_add_nc_u32_e32 v29, 0x1400, v54
	v_add_f32_e32 v17, v16, v7
	v_sub_f32_e32 v7, v7, v16
	v_add_f32_e32 v16, v15, v8
	v_sub_f32_e32 v12, v14, v9
	v_add_f32_e32 v9, v9, v14
	v_add_nc_u32_e32 v14, 0x1800, v54
	v_sub_f32_e32 v8, v8, v15
	ds_write2_b32 v29, v38, v16 offset0:64 offset1:112
	ds_write2_b32 v29, v9, v7 offset0:160 offset1:208
	ds_write2_b32 v14, v17, v12 offset1:48
	ds_write_b32 v54, v8 offset:6528
.LBB0_49:
	s_or_b32 exec_lo, exec_lo, s1
	v_add_f32_e32 v7, v67, v73
	v_add_f32_e32 v8, v68, v72
	;; [unrolled: 1-line block ×3, first 2 shown]
	v_sub_f32_e32 v14, v74, v37
	v_sub_f32_e32 v15, v39, v41
	;; [unrolled: 1-line block ×3, first 2 shown]
	v_add_f32_e32 v16, v8, v7
	v_sub_f32_e32 v17, v8, v7
	v_sub_f32_e32 v7, v7, v12
	;; [unrolled: 1-line block ×3, first 2 shown]
	v_add_f32_e32 v29, v15, v14
	v_add_f32_e32 v12, v12, v16
	v_sub_f32_e32 v16, v15, v14
	v_sub_f32_e32 v15, v9, v15
	;; [unrolled: 1-line block ×3, first 2 shown]
	v_add_f32_e32 v9, v29, v9
	v_add_f32_e32 v29, v10, v12
	v_mul_f32_e32 v7, 0x3f4a47b2, v7
	v_mul_f32_e32 v10, 0x3d64c772, v8
	;; [unrolled: 1-line block ×4, first 2 shown]
	v_fmamk_f32 v12, v12, 0xbf955555, v29
	v_fmamk_f32 v8, v8, 0x3d64c772, v7
	v_fma_f32 v10, 0x3f3bfb3b, v17, -v10
	v_fma_f32 v14, 0x3f5ff5aa, v14, -v16
	;; [unrolled: 1-line block ×3, first 2 shown]
	v_fmamk_f32 v35, v15, 0x3eae86e6, v16
	v_add_f32_e32 v36, v8, v12
	v_add_f32_e32 v8, v10, v12
	v_fmac_f32_e32 v14, 0x3ee1c552, v9
	v_fma_f32 v34, 0xbeae86e6, v15, -v34
	v_add_f32_e32 v37, v7, v12
	v_add_f32_e32 v7, v62, v70
	v_fmac_f32_e32 v35, 0x3ee1c552, v9
	v_add_f32_e32 v40, v14, v8
	v_sub_f32_e32 v41, v8, v14
	v_add_f32_e32 v8, v64, v69
	v_fmac_f32_e32 v34, 0x3ee1c552, v9
	v_sub_f32_e32 v9, v13, v21
	v_add_f32_e32 v10, v63, v65
	v_sub_f32_e32 v11, v11, v18
	v_sub_f32_e32 v12, v20, v19
	v_add_f32_e32 v13, v8, v7
	v_sub_f32_e32 v14, v8, v7
	v_sub_f32_e32 v7, v7, v10
	v_sub_f32_e32 v8, v10, v8
	v_add_f32_e32 v15, v12, v11
	v_add_f32_e32 v10, v10, v13
	v_sub_f32_e32 v13, v12, v11
	v_sub_f32_e32 v11, v11, v9
	;; [unrolled: 1-line block ×3, first 2 shown]
	v_add_f32_e32 v9, v15, v9
	v_add_f32_e32 v57, v58, v10
	v_mul_f32_e32 v13, 0xbf08b237, v13
	v_mul_f32_e32 v16, 0x3f5ff5aa, v11
	;; [unrolled: 1-line block ×4, first 2 shown]
	v_fmamk_f32 v10, v10, 0xbf955555, v57
	v_fmamk_f32 v58, v12, 0x3eae86e6, v13
	v_fma_f32 v59, 0x3f5ff5aa, v11, -v13
	v_fma_f32 v60, 0xbeae86e6, v12, -v16
	v_fmamk_f32 v8, v8, 0x3d64c772, v7
	v_fma_f32 v15, 0x3f3bfb3b, v14, -v15
	v_fma_f32 v7, 0xbf3bfb3b, v14, -v7
	v_fmac_f32_e32 v58, 0x3ee1c552, v9
	v_fmac_f32_e32 v59, 0x3ee1c552, v9
	;; [unrolled: 1-line block ×3, first 2 shown]
	v_add_nc_u32_e32 v9, 0xc00, v49
	v_add_f32_e32 v61, v8, v10
	v_add_f32_e32 v62, v15, v10
	;; [unrolled: 1-line block ×3, first 2 shown]
	v_add_nc_u32_e32 v10, 0x1400, v49
	v_add_nc_u32_e32 v13, 0x880, v49
	;; [unrolled: 1-line block ×3, first 2 shown]
	s_waitcnt lgkmcnt(0)
	s_barrier
	buffer_gl0_inv
	ds_read2st64_b32 v[7:8], v49 offset1:7
	ds_read_b32 v19, v53
	ds_read2_b32 v[11:12], v9 offset0:128 offset1:240
	ds_read2_b32 v[9:10], v10 offset0:64 offset1:176
	;; [unrolled: 1-line block ×4, first 2 shown]
	ds_read_b32 v20, v52
	ds_read_b32 v18, v51
	;; [unrolled: 1-line block ×3, first 2 shown]
	ds_read_b32 v21, v49 offset:6272
	v_sub_f32_e32 v38, v36, v35
	v_sub_f32_e32 v39, v37, v34
	v_add_f32_e32 v34, v34, v37
	v_add_f32_e32 v35, v35, v36
	v_sub_f32_e32 v36, v61, v58
	v_sub_f32_e32 v37, v63, v60
	v_add_f32_e32 v64, v59, v62
	v_sub_f32_e32 v59, v62, v59
	v_add_f32_e32 v60, v60, v63
	v_add_f32_e32 v58, v58, v61
	s_waitcnt lgkmcnt(0)
	s_barrier
	buffer_gl0_inv
	ds_write2_b32 v56, v29, v38 offset1:48
	ds_write2_b32 v56, v39, v40 offset0:96 offset1:144
	ds_write2_b32 v56, v41, v34 offset0:192 offset1:240
	ds_write_b32 v56, v35 offset:1152
	ds_write2_b32 v55, v57, v36 offset1:48
	ds_write2_b32 v55, v37, v64 offset0:96 offset1:144
	ds_write2_b32 v55, v59, v60 offset0:192 offset1:240
	ds_write_b32 v55, v58 offset:1152
	s_and_saveexec_b32 s1, s0
	s_cbranch_execz .LBB0_51
; %bb.50:
	v_add_f32_e32 v23, v23, v33
	v_add_f32_e32 v24, v24, v26
	v_sub_f32_e32 v26, v27, v28
	v_add_f32_e32 v22, v22, v25
	v_sub_f32_e32 v6, v6, v31
	v_sub_f32_e32 v25, v30, v32
	v_add_f32_e32 v27, v24, v23
	v_sub_f32_e32 v28, v24, v23
	v_sub_f32_e32 v23, v23, v22
	;; [unrolled: 1-line block ×3, first 2 shown]
	v_add_f32_e32 v29, v25, v6
	v_add_f32_e32 v22, v22, v27
	v_sub_f32_e32 v27, v25, v6
	v_sub_f32_e32 v6, v6, v26
	;; [unrolled: 1-line block ×3, first 2 shown]
	v_add_f32_e32 v26, v29, v26
	v_add_f32_e32 v4, v4, v22
	v_mul_f32_e32 v23, 0x3f4a47b2, v23
	v_mul_f32_e32 v29, 0x3d64c772, v24
	;; [unrolled: 1-line block ×4, first 2 shown]
	v_fmamk_f32 v22, v22, 0xbf955555, v4
	v_fmamk_f32 v24, v24, 0x3d64c772, v23
	v_fma_f32 v29, 0x3f3bfb3b, v28, -v29
	v_fma_f32 v23, 0xbf3bfb3b, v28, -v23
	v_fmamk_f32 v28, v25, 0x3eae86e6, v27
	v_fma_f32 v6, 0x3f5ff5aa, v6, -v27
	v_fma_f32 v25, 0xbeae86e6, v25, -v30
	v_add_f32_e32 v24, v24, v22
	v_add_f32_e32 v27, v29, v22
	v_fmac_f32_e32 v28, 0x3ee1c552, v26
	v_fmac_f32_e32 v6, 0x3ee1c552, v26
	v_add_f32_e32 v22, v23, v22
	v_fmac_f32_e32 v25, 0x3ee1c552, v26
	v_sub_f32_e32 v23, v24, v28
	v_add_f32_e32 v29, v6, v27
	v_sub_f32_e32 v6, v27, v6
	v_add_nc_u32_e32 v27, 0x1400, v54
	v_sub_f32_e32 v26, v22, v25
	v_add_f32_e32 v22, v25, v22
	v_add_nc_u32_e32 v25, 0x1800, v54
	v_add_f32_e32 v24, v28, v24
	ds_write2_b32 v27, v4, v23 offset0:64 offset1:112
	ds_write2_b32 v27, v26, v29 offset0:160 offset1:208
	ds_write2_b32 v25, v6, v22 offset1:48
	ds_write_b32 v54, v24 offset:6528
.LBB0_51:
	s_or_b32 exec_lo, exec_lo, s1
	s_waitcnt lgkmcnt(0)
	s_barrier
	buffer_gl0_inv
	s_and_saveexec_b32 s0, vcc_lo
	s_cbranch_execz .LBB0_53
; %bb.52:
	v_mov_b32_e32 v4, 0
	v_add_nc_u32_e32 v66, 0xc00, v49
	v_add_nc_u32_e32 v68, 0x1000, v49
	;; [unrolled: 1-line block ×4, first 2 shown]
	v_lshlrev_b64 v[22:23], 3, v[3:4]
	v_mov_b32_e32 v6, v4
	v_mad_u64_u32 v[58:59], null, s2, v43, 0
	v_mad_u64_u32 v[56:57], null, s2, v47, 0
	v_add_co_u32 v3, vcc_lo, s8, v22
	v_add_co_ci_u32_e32 v23, vcc_lo, s9, v23, vcc_lo
	v_lshlrev_b64 v[5:6], 3, v[5:6]
	v_add_co_u32 v26, vcc_lo, 0xa70, v3
	v_add_co_ci_u32_e32 v27, vcc_lo, 0, v23, vcc_lo
	v_add_co_u32 v22, vcc_lo, 0x800, v3
	v_add_co_ci_u32_e32 v23, vcc_lo, 0, v23, vcc_lo
	v_add_co_u32 v5, vcc_lo, s8, v5
	v_mov_b32_e32 v3, v4
	v_add_co_ci_u32_e32 v6, vcc_lo, s9, v6, vcc_lo
	v_add_co_u32 v30, vcc_lo, 0xa70, v5
	v_lshlrev_b64 v[2:3], 3, v[2:3]
	v_add_co_ci_u32_e32 v31, vcc_lo, 0, v6, vcc_lo
	v_add_co_u32 v4, vcc_lo, 0x800, v5
	v_add_co_ci_u32_e32 v5, vcc_lo, 0, v6, vcc_lo
	v_add_co_u32 v6, vcc_lo, s8, v2
	v_add_co_ci_u32_e32 v36, vcc_lo, s9, v3, vcc_lo
	s_clause 0x1
	global_load_dwordx4 v[22:25], v[22:23], off offset:624
	global_load_dwordx4 v[26:29], v[26:27], off offset:16
	v_add_co_u32 v34, vcc_lo, 0x800, v6
	v_add_co_ci_u32_e32 v35, vcc_lo, 0, v36, vcc_lo
	v_add_co_u32 v38, vcc_lo, 0xa70, v6
	v_add_co_ci_u32_e32 v39, vcc_lo, 0, v36, vcc_lo
	s_clause 0x3
	global_load_dwordx4 v[2:5], v[4:5], off offset:624
	global_load_dwordx4 v[30:33], v[30:31], off offset:16
	;; [unrolled: 1-line block ×4, first 2 shown]
	ds_read2st64_b32 v[54:55], v49 offset1:7
	v_add_nc_u32_e32 v6, 0x880, v49
	ds_read_b32 v87, v49 offset:6272
	ds_read_b32 v88, v52
	ds_read_b32 v89, v53
	;; [unrolled: 1-line block ×4, first 2 shown]
	v_mad_u64_u32 v[49:50], null, s2, v44, 0
	v_mad_u64_u32 v[51:52], null, s2, v46, 0
	;; [unrolled: 1-line block ×3, first 2 shown]
	v_add_nc_u32_e32 v86, 0x540, v44
	v_mad_u64_u32 v[72:73], null, s2, v85, 0
	ds_read2_b32 v[64:65], v6 offset0:16 offset1:240
	ds_read2_b32 v[66:67], v66 offset0:128 offset1:240
	;; [unrolled: 1-line block ×4, first 2 shown]
	v_mov_b32_e32 v6, v50
	v_mad_u64_u32 v[62:63], null, s2, v48, 0
	v_mad_u64_u32 v[74:75], null, s2, v86, 0
	v_mov_b32_e32 v50, v52
	v_mov_b32_e32 v53, v59
	;; [unrolled: 1-line block ×4, first 2 shown]
	v_add_nc_u32_e32 v92, 0x460, v44
	v_mad_u64_u32 v[80:81], null, s3, v44, v[6:7]
	v_mov_b32_e32 v6, v73
	v_mad_u64_u32 v[81:82], null, s3, v46, v[50:51]
	s_waitcnt lgkmcnt(9)
	v_mad_u64_u32 v[82:83], null, s3, v43, v[53:54]
	v_mad_u64_u32 v[83:84], null, s3, v45, v[57:58]
	v_add_nc_u32_e32 v93, 0x5b0, v44
	v_mad_u64_u32 v[76:77], null, s2, v92, 0
	v_mov_b32_e32 v59, v63
	v_mad_u64_u32 v[46:47], null, s3, v47, v[52:53]
	v_mov_b32_e32 v44, v75
	v_mad_u64_u32 v[84:85], null, s3, v85, v[6:7]
	v_mad_u64_u32 v[47:48], null, s3, v48, v[59:60]
	;; [unrolled: 1-line block ×3, first 2 shown]
	v_mov_b32_e32 v43, v77
	v_mov_b32_e32 v52, v81
	;; [unrolled: 1-line block ×6, first 2 shown]
	v_mad_u64_u32 v[85:86], null, s3, v92, v[43:44]
	v_lshlrev_b64 v[47:48], 3, v[51:52]
	v_mov_b32_e32 v75, v44
	v_lshlrev_b64 v[43:44], 3, v[56:57]
	v_lshlrev_b64 v[51:52], 3, v[60:61]
	;; [unrolled: 1-line block ×3, first 2 shown]
	v_mov_b32_e32 v50, v80
	v_mov_b32_e32 v59, v82
	v_add_co_u32 v0, vcc_lo, s12, v0
	v_add_co_ci_u32_e32 v1, vcc_lo, s13, v1, vcc_lo
	v_lshlrev_b64 v[45:46], 3, v[49:50]
	v_lshlrev_b64 v[49:50], 3, v[58:59]
	;; [unrolled: 1-line block ×3, first 2 shown]
	v_lshrrev_b32_e32 v94, 4, v42
	v_mad_u64_u32 v[78:79], null, s2, v93, 0
	v_add_co_u32 v45, vcc_lo, v0, v45
	v_add_co_ci_u32_e32 v46, vcc_lo, v1, v46, vcc_lo
	v_add_co_u32 v47, vcc_lo, v0, v47
	v_add_co_ci_u32_e32 v48, vcc_lo, v1, v48, vcc_lo
	;; [unrolled: 2-line block ×7, first 2 shown]
	s_waitcnt vmcnt(5) lgkmcnt(3)
	v_mul_f32_e32 v6, v22, v64
	s_waitcnt lgkmcnt(2)
	v_mul_f32_e32 v53, v24, v66
	s_waitcnt vmcnt(4)
	v_mul_f32_e32 v60, v28, v87
	s_waitcnt lgkmcnt(1)
	v_mul_f32_e32 v61, v26, v69
	v_mul_f32_e32 v66, v25, v66
	;; [unrolled: 1-line block ×5, first 2 shown]
	v_fmac_f32_e32 v6, v13, v23
	v_fmac_f32_e32 v53, v11, v25
	;; [unrolled: 1-line block ×4, first 2 shown]
	v_fma_f32 v11, v11, v24, -v66
	v_fma_f32 v16, v16, v26, -v69
	;; [unrolled: 1-line block ×4, first 2 shown]
	s_waitcnt vmcnt(3)
	v_mul_f32_e32 v22, v2, v55
	v_mul_f32_e32 v23, v4, v65
	s_waitcnt vmcnt(2) lgkmcnt(0)
	v_mul_f32_e32 v28, v32, v71
	v_mul_f32_e32 v24, v30, v68
	v_mul_f32_e32 v25, v5, v65
	v_mul_f32_e32 v26, v31, v68
	v_mul_f32_e32 v27, v3, v55
	v_mul_f32_e32 v29, v33, v71
	s_waitcnt vmcnt(1)
	v_mul_f32_e32 v64, v36, v89
	s_waitcnt vmcnt(0)
	v_mul_f32_e32 v66, v38, v67
	v_mul_f32_e32 v68, v37, v89
	;; [unrolled: 1-line block ×7, first 2 shown]
	v_sub_f32_e32 v71, v6, v53
	v_sub_f32_e32 v74, v13, v21
	;; [unrolled: 1-line block ×7, first 2 shown]
	v_add_f32_e32 v87, v6, v60
	v_sub_f32_e32 v88, v11, v13
	v_add_f32_e32 v92, v13, v21
	v_add_f32_e32 v6, v6, v90
	;; [unrolled: 1-line block ×3, first 2 shown]
	v_fmac_f32_e32 v22, v8, v3
	v_fmac_f32_e32 v23, v14, v5
	;; [unrolled: 1-line block ×4, first 2 shown]
	v_fma_f32 v25, v14, v4, -v25
	v_fma_f32 v26, v15, v30, -v26
	;; [unrolled: 1-line block ×4, first 2 shown]
	v_fmac_f32_e32 v64, v19, v37
	v_fmac_f32_e32 v66, v12, v39
	v_fma_f32 v27, v19, v36, -v68
	v_fma_f32 v29, v12, v38, -v67
	v_add_f32_e32 v81, v11, v16
	v_fmac_f32_e32 v55, v20, v35
	v_fmac_f32_e32 v65, v9, v41
	v_fma_f32 v10, v20, v34, -v69
	v_fma_f32 v32, v9, v40, -v70
	v_sub_f32_e32 v72, v60, v61
	v_add_f32_e32 v75, v53, v61
	v_sub_f32_e32 v89, v16, v21
	v_sub_f32_e32 v83, v53, v61
	v_add_f32_e32 v33, v77, v80
	v_add_f32_e32 v34, v84, v86
	;; [unrolled: 1-line block ×4, first 2 shown]
	v_sub_f32_e32 v13, v22, v23
	v_sub_f32_e32 v14, v28, v24
	v_add_f32_e32 v15, v23, v24
	v_add_f32_e32 v20, v25, v26
	v_sub_f32_e32 v38, v22, v28
	v_sub_f32_e32 v40, v23, v22
	v_add_f32_e32 v53, v22, v28
	v_add_f32_e32 v69, v8, v30
	;; [unrolled: 1-line block ×6, first 2 shown]
	v_fma_f32 v2, -0.5, v81, v18
	v_fma_f32 v4, -0.5, v92, v18
	v_sub_f32_e32 v18, v8, v25
	v_sub_f32_e32 v19, v30, v26
	v_add_f32_e32 v92, v55, v65
	v_add_f32_e32 v97, v10, v32
	;; [unrolled: 1-line block ×3, first 2 shown]
	v_fma_f32 v3, -0.5, v75, v90
	v_fma_f32 v5, -0.5, v87, v90
	v_add_f32_e32 v35, v88, v89
	v_sub_f32_e32 v71, v55, v64
	v_sub_f32_e32 v87, v55, v65
	;; [unrolled: 1-line block ×3, first 2 shown]
	v_add_f32_e32 v55, v55, v54
	v_add_f32_e32 v98, v7, v10
	v_sub_f32_e32 v73, v11, v16
	v_sub_f32_e32 v36, v25, v26
	;; [unrolled: 1-line block ×4, first 2 shown]
	v_add_f32_e32 v6, v61, v6
	v_add_f32_e32 v61, v12, v16
	;; [unrolled: 1-line block ×3, first 2 shown]
	v_fma_f32 v13, -0.5, v15, v91
	v_fma_f32 v12, -0.5, v20, v17
	;; [unrolled: 1-line block ×4, first 2 shown]
	v_add_f32_e32 v53, v23, v22
	v_add_f32_e32 v25, v70, v25
	v_fma_f32 v17, -0.5, v80, v54
	v_fma_f32 v16, -0.5, v86, v7
	v_sub_f32_e32 v75, v27, v29
	v_sub_f32_e32 v88, v64, v66
	v_add_f32_e32 v100, v18, v19
	v_fma_f32 v19, -0.5, v92, v54
	v_fma_f32 v18, -0.5, v97, v7
	v_fmamk_f32 v9, v74, 0x3f737871, v3
	v_fmac_f32_e32 v3, 0xbf737871, v74
	v_add_f32_e32 v55, v64, v55
	v_add_f32_e32 v64, v98, v27
	v_sub_f32_e32 v39, v23, v24
	v_sub_f32_e32 v41, v24, v28
	;; [unrolled: 1-line block ×6, first 2 shown]
	v_add_f32_e32 v7, v60, v6
	v_add_f32_e32 v53, v24, v53
	;; [unrolled: 1-line block ×3, first 2 shown]
	v_fmamk_f32 v25, v77, 0x3f737871, v17
	v_fmamk_f32 v24, v87, 0xbf737871, v16
	v_fmac_f32_e32 v17, 0xbf737871, v77
	v_fmac_f32_e32 v16, 0x3f737871, v87
	v_sub_f32_e32 v37, v8, v30
	v_sub_f32_e32 v90, v66, v65
	;; [unrolled: 1-line block ×4, first 2 shown]
	v_fmamk_f32 v27, v75, 0x3f737871, v19
	v_fmamk_f32 v26, v88, 0xbf737871, v18
	v_fmac_f32_e32 v19, 0xbf737871, v75
	v_fmac_f32_e32 v18, 0x3f737871, v88
	;; [unrolled: 1-line block ×4, first 2 shown]
	v_add_f32_e32 v6, v21, v61
	v_add_f32_e32 v55, v66, v55
	;; [unrolled: 1-line block ×7, first 2 shown]
	v_fmac_f32_e32 v17, 0xbf167918, v75
	v_fmac_f32_e32 v16, 0x3f167918, v88
	v_add_f32_e32 v69, v89, v90
	v_add_f32_e32 v54, v95, v96
	v_fmamk_f32 v21, v37, 0x3f737871, v13
	v_fmamk_f32 v20, v38, 0xbf737871, v12
	v_fmac_f32_e32 v13, 0xbf737871, v37
	v_fmac_f32_e32 v12, 0x3f737871, v38
	;; [unrolled: 1-line block ×10, first 2 shown]
	v_add_f32_e32 v29, v28, v53
	v_add_f32_e32 v28, v30, v60
	;; [unrolled: 1-line block ×4, first 2 shown]
	v_fmac_f32_e32 v17, 0x3e9e377a, v67
	v_fmac_f32_e32 v16, 0x3e9e377a, v68
	v_fmac_f32_e32 v13, 0xbf167918, v36
	v_fmac_f32_e32 v12, 0x3f167918, v39
	v_fmac_f32_e32 v27, 0x3e9e377a, v69
	v_fmac_f32_e32 v26, 0x3e9e377a, v54
	v_mov_b32_e32 v77, v85
	v_fmac_f32_e32 v19, 0x3e9e377a, v69
	v_fmac_f32_e32 v18, 0x3e9e377a, v54
	;; [unrolled: 1-line block ×4, first 2 shown]
	global_store_dwordx2 v[45:46], v[30:31], off
	global_store_dwordx2 v[47:48], v[16:17], off
	;; [unrolled: 1-line block ×5, first 2 shown]
	v_mul_hi_u32 v19, 0x18618619, v94
	v_fmac_f32_e32 v13, 0x3e9e377a, v99
	v_fmac_f32_e32 v12, 0x3e9e377a, v100
	v_lshlrev_b64 v[17:18], 3, v[76:77]
	v_mov_b32_e32 v16, v79
	global_store_dwordx2 v[49:50], v[28:29], off
	v_fmamk_f32 v23, v36, 0xbf737871, v15
	global_store_dwordx2 v[51:52], v[12:13], off
	v_lshlrev_b64 v[12:13], 3, v[62:63]
	v_mad_u64_u32 v[24:25], null, s3, v93, v[16:17]
	v_lshrrev_b32_e32 v16, 1, v19
	v_fmamk_f32 v22, v39, 0x3f737871, v14
	v_fmac_f32_e32 v15, 0x3f737871, v36
	v_fmac_f32_e32 v14, 0xbf737871, v39
	v_add_co_u32 v12, vcc_lo, v0, v12
	v_mad_u32_u24 v27, 0x540, v16, v42
	v_add_co_ci_u32_e32 v13, vcc_lo, v1, v13, vcc_lo
	v_fmac_f32_e32 v23, 0x3f167918, v37
	v_fmac_f32_e32 v22, 0xbf167918, v38
	;; [unrolled: 1-line block ×4, first 2 shown]
	v_add_co_u32 v16, vcc_lo, v0, v17
	v_add_co_ci_u32_e32 v17, vcc_lo, v1, v18, vcc_lo
	v_mad_u64_u32 v[18:19], null, s2, v27, 0
	v_fmac_f32_e32 v23, 0x3e9e377a, v40
	v_fmac_f32_e32 v22, 0x3e9e377a, v41
	v_fmac_f32_e32 v15, 0x3e9e377a, v40
	v_fmac_f32_e32 v14, 0x3e9e377a, v41
	v_mov_b32_e32 v79, v24
	v_add_nc_u32_e32 v24, 0x150, v27
	v_add_nc_u32_e32 v28, 0x2a0, v27
	;; [unrolled: 1-line block ×3, first 2 shown]
	global_store_dwordx2 v[12:13], v[14:15], off
	global_store_dwordx2 v[16:17], v[22:23], off
	v_mov_b32_e32 v16, v19
	v_mad_u64_u32 v[14:15], null, s2, v24, 0
	v_mad_u64_u32 v[22:23], null, s2, v28, 0
	;; [unrolled: 1-line block ×3, first 2 shown]
	v_lshlrev_b64 v[12:13], 3, v[78:79]
	v_fmac_f32_e32 v21, 0x3f167918, v36
	v_fmac_f32_e32 v20, 0xbf167918, v39
	v_add_nc_u32_e32 v30, 0x540, v27
	v_fmamk_f32 v8, v82, 0xbf737871, v2
	v_fmac_f32_e32 v2, 0x3f737871, v82
	v_mad_u64_u32 v[24:25], null, s3, v24, v[15:16]
	v_mad_u64_u32 v[25:26], null, s2, v29, 0
	v_add_co_u32 v12, vcc_lo, v0, v12
	v_mov_b32_e32 v15, v23
	v_fmac_f32_e32 v21, 0x3e9e377a, v99
	v_fmac_f32_e32 v20, 0x3e9e377a, v100
	v_add_co_ci_u32_e32 v13, vcc_lo, v1, v13, vcc_lo
	v_mad_u64_u32 v[27:28], null, s3, v28, v[15:16]
	v_mov_b32_e32 v19, v16
	v_mad_u64_u32 v[16:17], null, s2, v30, 0
	global_store_dwordx2 v[12:13], v[20:21], off
	v_mov_b32_e32 v12, v26
	v_mov_b32_e32 v15, v24
	v_lshlrev_b64 v[18:19], 3, v[18:19]
	v_mov_b32_e32 v23, v27
	v_fmamk_f32 v11, v73, 0x3f737871, v5
	v_mad_u64_u32 v[12:13], null, s3, v29, v[12:13]
	v_lshlrev_b64 v[14:15], 3, v[14:15]
	v_mov_b32_e32 v13, v17
	v_add_co_u32 v18, vcc_lo, v0, v18
	v_add_co_ci_u32_e32 v19, vcc_lo, v1, v19, vcc_lo
	v_mad_u64_u32 v[20:21], null, s3, v30, v[13:14]
	v_mov_b32_e32 v26, v12
	v_lshlrev_b64 v[21:22], 3, v[22:23]
	v_add_co_u32 v12, vcc_lo, v0, v14
	v_fmamk_f32 v10, v83, 0xbf737871, v4
	v_fmac_f32_e32 v5, 0xbf737871, v73
	v_mov_b32_e32 v17, v20
	v_fmac_f32_e32 v4, 0x3f737871, v83
	v_add_co_ci_u32_e32 v13, vcc_lo, v1, v15, vcc_lo
	v_lshlrev_b64 v[14:15], 3, v[25:26]
	v_fmac_f32_e32 v2, 0x3f167918, v83
	v_add_co_u32 v20, vcc_lo, v0, v21
	v_lshlrev_b64 v[16:17], 3, v[16:17]
	v_fmac_f32_e32 v11, 0xbf167918, v74
	v_fmac_f32_e32 v10, 0x3f167918, v82
	;; [unrolled: 1-line block ×4, first 2 shown]
	v_add_co_ci_u32_e32 v21, vcc_lo, v1, v22, vcc_lo
	v_fmac_f32_e32 v8, 0xbf167918, v83
	v_add_co_u32 v14, vcc_lo, v0, v14
	v_fmac_f32_e32 v2, 0x3e9e377a, v33
	v_add_co_ci_u32_e32 v15, vcc_lo, v1, v15, vcc_lo
	v_fmac_f32_e32 v11, 0x3e9e377a, v34
	v_fmac_f32_e32 v10, 0x3e9e377a, v35
	v_add_co_u32 v0, vcc_lo, v0, v16
	v_fmac_f32_e32 v5, 0x3e9e377a, v34
	v_fmac_f32_e32 v4, 0x3e9e377a, v35
	;; [unrolled: 1-line block ×3, first 2 shown]
	v_add_co_ci_u32_e32 v1, vcc_lo, v1, v17, vcc_lo
	global_store_dwordx2 v[18:19], v[6:7], off
	global_store_dwordx2 v[12:13], v[2:3], off
	;; [unrolled: 1-line block ×5, first 2 shown]
.LBB0_53:
	s_endpgm
	.section	.rodata,"a",@progbits
	.p2align	6, 0x0
	.amdhsa_kernel fft_rtc_fwd_len1680_factors_2_2_2_2_3_7_5_wgs_112_tpt_112_halfLds_sp_ip_CI_sbrr_dirReg
		.amdhsa_group_segment_fixed_size 0
		.amdhsa_private_segment_fixed_size 0
		.amdhsa_kernarg_size 88
		.amdhsa_user_sgpr_count 6
		.amdhsa_user_sgpr_private_segment_buffer 1
		.amdhsa_user_sgpr_dispatch_ptr 0
		.amdhsa_user_sgpr_queue_ptr 0
		.amdhsa_user_sgpr_kernarg_segment_ptr 1
		.amdhsa_user_sgpr_dispatch_id 0
		.amdhsa_user_sgpr_flat_scratch_init 0
		.amdhsa_user_sgpr_private_segment_size 0
		.amdhsa_wavefront_size32 1
		.amdhsa_uses_dynamic_stack 0
		.amdhsa_system_sgpr_private_segment_wavefront_offset 0
		.amdhsa_system_sgpr_workgroup_id_x 1
		.amdhsa_system_sgpr_workgroup_id_y 0
		.amdhsa_system_sgpr_workgroup_id_z 0
		.amdhsa_system_sgpr_workgroup_info 0
		.amdhsa_system_vgpr_workitem_id 0
		.amdhsa_next_free_vgpr 112
		.amdhsa_next_free_sgpr 23
		.amdhsa_reserve_vcc 1
		.amdhsa_reserve_flat_scratch 0
		.amdhsa_float_round_mode_32 0
		.amdhsa_float_round_mode_16_64 0
		.amdhsa_float_denorm_mode_32 3
		.amdhsa_float_denorm_mode_16_64 3
		.amdhsa_dx10_clamp 1
		.amdhsa_ieee_mode 1
		.amdhsa_fp16_overflow 0
		.amdhsa_workgroup_processor_mode 1
		.amdhsa_memory_ordered 1
		.amdhsa_forward_progress 0
		.amdhsa_shared_vgpr_count 0
		.amdhsa_exception_fp_ieee_invalid_op 0
		.amdhsa_exception_fp_denorm_src 0
		.amdhsa_exception_fp_ieee_div_zero 0
		.amdhsa_exception_fp_ieee_overflow 0
		.amdhsa_exception_fp_ieee_underflow 0
		.amdhsa_exception_fp_ieee_inexact 0
		.amdhsa_exception_int_div_zero 0
	.end_amdhsa_kernel
	.text
.Lfunc_end0:
	.size	fft_rtc_fwd_len1680_factors_2_2_2_2_3_7_5_wgs_112_tpt_112_halfLds_sp_ip_CI_sbrr_dirReg, .Lfunc_end0-fft_rtc_fwd_len1680_factors_2_2_2_2_3_7_5_wgs_112_tpt_112_halfLds_sp_ip_CI_sbrr_dirReg
                                        ; -- End function
	.section	.AMDGPU.csdata,"",@progbits
; Kernel info:
; codeLenInByte = 12492
; NumSgprs: 25
; NumVgprs: 112
; ScratchSize: 0
; MemoryBound: 0
; FloatMode: 240
; IeeeMode: 1
; LDSByteSize: 0 bytes/workgroup (compile time only)
; SGPRBlocks: 3
; VGPRBlocks: 13
; NumSGPRsForWavesPerEU: 25
; NumVGPRsForWavesPerEU: 112
; Occupancy: 9
; WaveLimiterHint : 1
; COMPUTE_PGM_RSRC2:SCRATCH_EN: 0
; COMPUTE_PGM_RSRC2:USER_SGPR: 6
; COMPUTE_PGM_RSRC2:TRAP_HANDLER: 0
; COMPUTE_PGM_RSRC2:TGID_X_EN: 1
; COMPUTE_PGM_RSRC2:TGID_Y_EN: 0
; COMPUTE_PGM_RSRC2:TGID_Z_EN: 0
; COMPUTE_PGM_RSRC2:TIDIG_COMP_CNT: 0
	.text
	.p2alignl 6, 3214868480
	.fill 48, 4, 3214868480
	.type	__hip_cuid_2e0764bc49e5111e,@object ; @__hip_cuid_2e0764bc49e5111e
	.section	.bss,"aw",@nobits
	.globl	__hip_cuid_2e0764bc49e5111e
__hip_cuid_2e0764bc49e5111e:
	.byte	0                               ; 0x0
	.size	__hip_cuid_2e0764bc49e5111e, 1

	.ident	"AMD clang version 19.0.0git (https://github.com/RadeonOpenCompute/llvm-project roc-6.4.0 25133 c7fe45cf4b819c5991fe208aaa96edf142730f1d)"
	.section	".note.GNU-stack","",@progbits
	.addrsig
	.addrsig_sym __hip_cuid_2e0764bc49e5111e
	.amdgpu_metadata
---
amdhsa.kernels:
  - .args:
      - .actual_access:  read_only
        .address_space:  global
        .offset:         0
        .size:           8
        .value_kind:     global_buffer
      - .offset:         8
        .size:           8
        .value_kind:     by_value
      - .actual_access:  read_only
        .address_space:  global
        .offset:         16
        .size:           8
        .value_kind:     global_buffer
      - .actual_access:  read_only
        .address_space:  global
        .offset:         24
        .size:           8
        .value_kind:     global_buffer
      - .offset:         32
        .size:           8
        .value_kind:     by_value
      - .actual_access:  read_only
        .address_space:  global
        .offset:         40
        .size:           8
        .value_kind:     global_buffer
      - .actual_access:  read_only
        .address_space:  global
        .offset:         48
        .size:           8
        .value_kind:     global_buffer
      - .offset:         56
        .size:           4
        .value_kind:     by_value
      - .actual_access:  read_only
        .address_space:  global
        .offset:         64
        .size:           8
        .value_kind:     global_buffer
      - .actual_access:  read_only
        .address_space:  global
        .offset:         72
        .size:           8
        .value_kind:     global_buffer
      - .address_space:  global
        .offset:         80
        .size:           8
        .value_kind:     global_buffer
    .group_segment_fixed_size: 0
    .kernarg_segment_align: 8
    .kernarg_segment_size: 88
    .language:       OpenCL C
    .language_version:
      - 2
      - 0
    .max_flat_workgroup_size: 112
    .name:           fft_rtc_fwd_len1680_factors_2_2_2_2_3_7_5_wgs_112_tpt_112_halfLds_sp_ip_CI_sbrr_dirReg
    .private_segment_fixed_size: 0
    .sgpr_count:     25
    .sgpr_spill_count: 0
    .symbol:         fft_rtc_fwd_len1680_factors_2_2_2_2_3_7_5_wgs_112_tpt_112_halfLds_sp_ip_CI_sbrr_dirReg.kd
    .uniform_work_group_size: 1
    .uses_dynamic_stack: false
    .vgpr_count:     112
    .vgpr_spill_count: 0
    .wavefront_size: 32
    .workgroup_processor_mode: 1
amdhsa.target:   amdgcn-amd-amdhsa--gfx1030
amdhsa.version:
  - 1
  - 2
...

	.end_amdgpu_metadata
